;; amdgpu-corpus repo=zjin-lcf/HeCBench kind=compiled arch=gfx1250 opt=O3
	.amdgcn_target "amdgcn-amd-amdhsa--gfx1250"
	.amdhsa_code_object_version 6
	.text
	.protected	_Z12vanGenuchtenPKdS0_PdS1_S1_i ; -- Begin function _Z12vanGenuchtenPKdS0_PdS1_S1_i
	.globl	_Z12vanGenuchtenPKdS0_PdS1_S1_i
	.p2align	8
	.type	_Z12vanGenuchtenPKdS0_PdS1_S1_i,@function
_Z12vanGenuchtenPKdS0_PdS1_S1_i:        ; @_Z12vanGenuchtenPKdS0_PdS1_S1_i
; %bb.0:
	s_clause 0x1
	s_load_b32 s2, s[0:1], 0x3c
	s_load_b32 s3, s[0:1], 0x28
	s_bfe_u32 s4, ttmp6, 0x4000c
	s_and_b32 s5, ttmp6, 15
	s_add_co_i32 s4, s4, 1
	s_getreg_b32 s6, hwreg(HW_REG_IB_STS2, 6, 4)
	s_mul_i32 s4, ttmp9, s4
	s_delay_alu instid0(SALU_CYCLE_1) | instskip(SKIP_4) | instid1(SALU_CYCLE_1)
	s_add_co_i32 s5, s5, s4
	s_wait_kmcnt 0x0
	s_and_b32 s2, s2, 0xffff
	s_cmp_eq_u32 s6, 0
	s_cselect_b32 s4, ttmp9, s5
	v_mad_u32 v0, s4, s2, v0
	s_mov_b32 s2, exec_lo
	s_delay_alu instid0(VALU_DEP_1)
	v_cmpx_gt_i32_e64 s3, v0
	s_cbranch_execz .LBB0_6
; %bb.1:
	s_clause 0x1
	s_load_b128 s[12:15], s[0:1], 0x0
	s_load_b128 s[8:11], s[0:1], 0x18
	v_mov_b64_e32 v[24:25], 0x3fdccccccccccccd
	v_ashrrev_i32_e32 v1, 31, v0
	s_wait_kmcnt 0x0
	global_load_b64 v[2:3], v0, s[14:15] scale_offset
	s_wait_loadcnt 0x0
	v_mul_f64_e32 v[2:3], 0x40590000, v[2:3]
	s_delay_alu instid0(VALU_DEP_1)
	v_cmp_gt_f64_e64 s2, 0, v[2:3]
	s_and_saveexec_b32 s16, s2
	s_cbranch_execz .LBB0_3
; %bb.2:
	v_mul_f64_e32 v[4:5], 0xbf947ae147ae147b, v[2:3]
	s_mov_b64 s[14:15], 0x3fe5555555555555
	s_mov_b64 s[6:7], 0x3fe62e42fefa39ef
	s_delay_alu instid0(VALU_DEP_1) | instskip(NEXT) | instid1(VALU_DEP_1)
	v_frexp_mant_f64_e32 v[6:7], v[4:5]
	v_cmp_gt_f64_e32 vcc_lo, s[14:15], v[6:7]
	v_cndmask_b32_e64 v8, 0, 1, vcc_lo
	s_delay_alu instid0(VALU_DEP_1) | instskip(NEXT) | instid1(VALU_DEP_1)
	v_ldexp_f64 v[6:7], v[6:7], v8
	v_add_f64_e32 v[8:9], 1.0, v[6:7]
	v_add_f64_e32 v[14:15], -1.0, v[6:7]
	s_delay_alu instid0(VALU_DEP_2) | instskip(SKIP_1) | instid1(VALU_DEP_1)
	v_rcp_f64_e32 v[10:11], v[8:9]
	v_add_f64_e32 v[16:17], -1.0, v[8:9]
	v_add_f64_e64 v[6:7], v[6:7], -v[16:17]
	s_delay_alu instid0(TRANS32_DEP_1) | instskip(NEXT) | instid1(VALU_DEP_1)
	v_fma_f64 v[12:13], -v[8:9], v[10:11], 1.0
	v_fmac_f64_e32 v[10:11], v[12:13], v[10:11]
	s_delay_alu instid0(VALU_DEP_1) | instskip(NEXT) | instid1(VALU_DEP_1)
	v_fma_f64 v[12:13], -v[8:9], v[10:11], 1.0
	v_fmac_f64_e32 v[10:11], v[12:13], v[10:11]
	s_delay_alu instid0(VALU_DEP_1) | instskip(NEXT) | instid1(VALU_DEP_1)
	v_mul_f64_e32 v[12:13], v[14:15], v[10:11]
	v_mul_f64_e32 v[18:19], v[8:9], v[12:13]
	s_delay_alu instid0(VALU_DEP_1) | instskip(NEXT) | instid1(VALU_DEP_1)
	v_fma_f64 v[8:9], v[12:13], v[8:9], -v[18:19]
	v_fmac_f64_e32 v[8:9], v[12:13], v[6:7]
	s_delay_alu instid0(VALU_DEP_1) | instskip(NEXT) | instid1(VALU_DEP_1)
	v_add_f64_e32 v[6:7], v[18:19], v[8:9]
	v_add_f64_e64 v[16:17], v[14:15], -v[6:7]
	v_add_f64_e64 v[18:19], v[6:7], -v[18:19]
	s_delay_alu instid0(VALU_DEP_2) | instskip(NEXT) | instid1(VALU_DEP_2)
	v_add_f64_e64 v[14:15], v[14:15], -v[16:17]
	v_add_f64_e64 v[8:9], v[18:19], -v[8:9]
	s_delay_alu instid0(VALU_DEP_2) | instskip(NEXT) | instid1(VALU_DEP_1)
	v_add_f64_e64 v[6:7], v[14:15], -v[6:7]
	v_add_f64_e32 v[6:7], v[8:9], v[6:7]
	s_delay_alu instid0(VALU_DEP_1) | instskip(NEXT) | instid1(VALU_DEP_1)
	v_add_f64_e32 v[6:7], v[16:17], v[6:7]
	v_mul_f64_e32 v[6:7], v[10:11], v[6:7]
	s_delay_alu instid0(VALU_DEP_1) | instskip(NEXT) | instid1(VALU_DEP_1)
	v_add_f64_e32 v[10:11], v[12:13], v[6:7]
	v_add_f64_e64 v[8:9], v[10:11], -v[12:13]
	v_mul_f64_e32 v[12:13], v[10:11], v[10:11]
	s_delay_alu instid0(VALU_DEP_2) | instskip(NEXT) | instid1(VALU_DEP_2)
	v_add_f64_e64 v[6:7], v[6:7], -v[8:9]
	v_fma_f64 v[14:15], v[10:11], v[10:11], -v[12:13]
	s_delay_alu instid0(VALU_DEP_2) | instskip(NEXT) | instid1(VALU_DEP_1)
	v_add_f64_e32 v[8:9], v[6:7], v[6:7]
	v_fmac_f64_e32 v[14:15], v[10:11], v[8:9]
	v_mov_b64_e32 v[8:9], 0x3fba6564968915a9
	s_delay_alu instid0(VALU_DEP_2) | instskip(NEXT) | instid1(VALU_DEP_1)
	v_add_f64_e32 v[16:17], v[12:13], v[14:15]
	v_fmamk_f64 v[18:19], v[16:17], 0x3fbdee674222de17, v[8:9]
	v_add_f64_e64 v[12:13], v[16:17], -v[12:13]
	v_mul_f64_e32 v[24:25], v[10:11], v[16:17]
	s_delay_alu instid0(VALU_DEP_3) | instskip(NEXT) | instid1(VALU_DEP_1)
	v_fmaak_f64 v[18:19], v[16:17], v[18:19], 0x3fbe25e43abe935a
	v_fmaak_f64 v[18:19], v[16:17], v[18:19], 0x3fc110ef47e6c9c2
	s_delay_alu instid0(VALU_DEP_1) | instskip(NEXT) | instid1(VALU_DEP_1)
	v_fmaak_f64 v[18:19], v[16:17], v[18:19], 0x3fc3b13bcfa74449
	v_fmaak_f64 v[18:19], v[16:17], v[18:19], 0x3fc745d171bf3c30
	v_add_f64_e64 v[12:13], v[14:15], -v[12:13]
	s_delay_alu instid0(VALU_DEP_2) | instskip(NEXT) | instid1(VALU_DEP_1)
	v_fmaak_f64 v[18:19], v[16:17], v[18:19], 0x3fcc71c71c7792ce
	v_fmaak_f64 v[18:19], v[16:17], v[18:19], 0x3fd24924924920da
	s_delay_alu instid0(VALU_DEP_1) | instskip(NEXT) | instid1(VALU_DEP_1)
	v_fmaak_f64 v[18:19], v[16:17], v[18:19], 0x3fd999999999999c
	v_mul_f64_e32 v[20:21], v[16:17], v[18:19]
	s_delay_alu instid0(VALU_DEP_1) | instskip(NEXT) | instid1(VALU_DEP_1)
	v_fma_f64 v[14:15], v[16:17], v[18:19], -v[20:21]
	v_fmac_f64_e32 v[14:15], v[12:13], v[18:19]
	s_delay_alu instid0(VALU_DEP_1) | instskip(NEXT) | instid1(VALU_DEP_1)
	v_add_f64_e32 v[18:19], v[20:21], v[14:15]
	v_add_f64_e32 v[22:23], 0x3fe5555555555555, v[18:19]
	v_add_f64_e64 v[20:21], v[18:19], -v[20:21]
	s_delay_alu instid0(VALU_DEP_2) | instskip(NEXT) | instid1(VALU_DEP_2)
	v_add_f64_e32 v[26:27], 0xbfe5555555555555, v[22:23]
	v_add_f64_e64 v[14:15], v[14:15], -v[20:21]
	v_fma_f64 v[20:21], v[16:17], v[10:11], -v[24:25]
	s_delay_alu instid0(VALU_DEP_3) | instskip(NEXT) | instid1(VALU_DEP_3)
	v_add_f64_e64 v[18:19], v[18:19], -v[26:27]
	v_add_f64_e32 v[14:15], 0x3c8543b0d5df274d, v[14:15]
	s_delay_alu instid0(VALU_DEP_3) | instskip(SKIP_1) | instid1(VALU_DEP_3)
	v_fmac_f64_e32 v[20:21], v[16:17], v[6:7]
	v_ldexp_f64 v[6:7], v[6:7], 1
	v_add_f64_e32 v[14:15], v[14:15], v[18:19]
	s_delay_alu instid0(VALU_DEP_3) | instskip(SKIP_1) | instid1(VALU_DEP_3)
	v_fmac_f64_e32 v[20:21], v[12:13], v[10:11]
	v_ldexp_f64 v[10:11], v[10:11], 1
	v_add_f64_e32 v[12:13], v[22:23], v[14:15]
	s_delay_alu instid0(VALU_DEP_3) | instskip(NEXT) | instid1(VALU_DEP_2)
	v_add_f64_e32 v[16:17], v[24:25], v[20:21]
	v_add_f64_e64 v[18:19], v[22:23], -v[12:13]
	s_delay_alu instid0(VALU_DEP_2) | instskip(SKIP_1) | instid1(VALU_DEP_3)
	v_mul_f64_e32 v[22:23], v[16:17], v[12:13]
	v_add_f64_e64 v[24:25], v[16:17], -v[24:25]
	v_add_f64_e32 v[14:15], v[14:15], v[18:19]
	s_delay_alu instid0(VALU_DEP_3) | instskip(NEXT) | instid1(VALU_DEP_3)
	v_fma_f64 v[18:19], v[16:17], v[12:13], -v[22:23]
	v_add_f64_e64 v[20:21], v[20:21], -v[24:25]
	s_delay_alu instid0(VALU_DEP_2) | instskip(SKIP_1) | instid1(VALU_DEP_2)
	v_fmac_f64_e32 v[18:19], v[16:17], v[14:15]
	v_frexp_exp_i32_f64_e32 v14, v[4:5]
	v_fmac_f64_e32 v[18:19], v[20:21], v[12:13]
	s_delay_alu instid0(VALU_DEP_2) | instskip(SKIP_1) | instid1(VALU_DEP_2)
	v_subrev_co_ci_u32_e64 v14, null, 0, v14, vcc_lo
	v_cmp_eq_f64_e32 vcc_lo, 1.0, v[4:5]
	v_cvt_f64_i32_e32 v[14:15], v14
	s_delay_alu instid0(VALU_DEP_4) | instskip(NEXT) | instid1(VALU_DEP_1)
	v_add_f64_e32 v[12:13], v[22:23], v[18:19]
	v_add_f64_e32 v[16:17], v[10:11], v[12:13]
	v_add_f64_e64 v[20:21], v[12:13], -v[22:23]
	s_delay_alu instid0(VALU_DEP_4) | instskip(NEXT) | instid1(VALU_DEP_3)
	v_mul_f64_e32 v[22:23], 0x3fe62e42fefa39ef, v[14:15]
	v_add_f64_e64 v[10:11], v[16:17], -v[10:11]
	s_delay_alu instid0(VALU_DEP_3) | instskip(NEXT) | instid1(VALU_DEP_3)
	v_add_f64_e64 v[18:19], v[18:19], -v[20:21]
	v_fma_f64 v[20:21], v[14:15], s[6:7], -v[22:23]
	s_delay_alu instid0(VALU_DEP_3) | instskip(NEXT) | instid1(VALU_DEP_3)
	v_add_f64_e64 v[10:11], v[12:13], -v[10:11]
	v_add_f64_e32 v[6:7], v[6:7], v[18:19]
	s_delay_alu instid0(VALU_DEP_3) | instskip(NEXT) | instid1(VALU_DEP_2)
	v_fmac_f64_e32 v[20:21], 0x3c7abc9e3b39803f, v[14:15]
	v_add_f64_e32 v[6:7], v[6:7], v[10:11]
	s_delay_alu instid0(VALU_DEP_2) | instskip(NEXT) | instid1(VALU_DEP_2)
	v_add_f64_e32 v[10:11], v[22:23], v[20:21]
	v_add_f64_e32 v[12:13], v[16:17], v[6:7]
	s_delay_alu instid0(VALU_DEP_2) | instskip(NEXT) | instid1(VALU_DEP_2)
	v_add_f64_e64 v[22:23], v[10:11], -v[22:23]
	v_add_f64_e32 v[14:15], v[10:11], v[12:13]
	v_add_f64_e64 v[16:17], v[12:13], -v[16:17]
	s_delay_alu instid0(VALU_DEP_3) | instskip(NEXT) | instid1(VALU_DEP_3)
	v_add_f64_e64 v[20:21], v[20:21], -v[22:23]
	v_add_f64_e64 v[18:19], v[14:15], -v[10:11]
	s_delay_alu instid0(VALU_DEP_3) | instskip(NEXT) | instid1(VALU_DEP_2)
	v_add_f64_e64 v[6:7], v[6:7], -v[16:17]
	v_add_f64_e64 v[24:25], v[14:15], -v[18:19]
	;; [unrolled: 1-line block ×3, first 2 shown]
	s_delay_alu instid0(VALU_DEP_3) | instskip(NEXT) | instid1(VALU_DEP_3)
	v_add_f64_e32 v[16:17], v[20:21], v[6:7]
	v_add_f64_e64 v[10:11], v[10:11], -v[24:25]
	s_delay_alu instid0(VALU_DEP_1) | instskip(NEXT) | instid1(VALU_DEP_3)
	v_add_f64_e32 v[10:11], v[12:13], v[10:11]
	v_add_f64_e64 v[12:13], v[16:17], -v[20:21]
	s_delay_alu instid0(VALU_DEP_2) | instskip(NEXT) | instid1(VALU_DEP_2)
	v_add_f64_e32 v[10:11], v[16:17], v[10:11]
	v_add_f64_e64 v[16:17], v[16:17], -v[12:13]
	v_add_f64_e64 v[6:7], v[6:7], -v[12:13]
	s_delay_alu instid0(VALU_DEP_3) | instskip(NEXT) | instid1(VALU_DEP_3)
	v_add_f64_e32 v[18:19], v[14:15], v[10:11]
	v_add_f64_e64 v[12:13], v[20:21], -v[16:17]
	s_delay_alu instid0(VALU_DEP_2) | instskip(NEXT) | instid1(VALU_DEP_2)
	v_add_f64_e64 v[14:15], v[18:19], -v[14:15]
	v_add_f64_e32 v[6:7], v[6:7], v[12:13]
	s_delay_alu instid0(VALU_DEP_2) | instskip(SKIP_1) | instid1(VALU_DEP_2)
	v_add_f64_e64 v[10:11], v[10:11], -v[14:15]
	v_cndmask_b32_e64 v14, 0xcccccccd, 0, vcc_lo
	v_add_f64_e32 v[6:7], v[6:7], v[10:11]
	v_mov_b32_e32 v10, 0x3ff00000
	s_delay_alu instid0(VALU_DEP_1) | instskip(NEXT) | instid1(VALU_DEP_3)
	v_cndmask_b32_e32 v15, 0x3ffccccc, v10, vcc_lo
	v_add_f64_e32 v[12:13], v[18:19], v[6:7]
	s_delay_alu instid0(VALU_DEP_1) | instskip(NEXT) | instid1(VALU_DEP_3)
	v_add_f64_e64 v[16:17], v[12:13], -v[18:19]
	v_mul_f64_e32 v[18:19], v[14:15], v[12:13]
	s_delay_alu instid0(VALU_DEP_2) | instskip(NEXT) | instid1(VALU_DEP_2)
	v_add_f64_e64 v[6:7], v[6:7], -v[16:17]
	v_fma_f64 v[12:13], v[14:15], v[12:13], -v[18:19]
	v_cmp_class_f64_e64 vcc_lo, v[18:19], 0x204
	s_delay_alu instid0(VALU_DEP_2) | instskip(NEXT) | instid1(VALU_DEP_1)
	v_fmac_f64_e32 v[12:13], v[14:15], v[6:7]
	v_add_f64_e32 v[14:15], v[18:19], v[12:13]
	s_delay_alu instid0(VALU_DEP_1) | instskip(SKIP_1) | instid1(VALU_DEP_2)
	v_dual_cndmask_b32 v17, v15, v19 :: v_dual_cndmask_b32 v16, v14, v18
	v_add_f64_e64 v[14:15], v[14:15], -v[18:19]
	v_mul_f64_e32 v[6:7], 0x3ff71547652b82fe, v[16:17]
	v_cmp_nlt_f64_e64 s3, 0x40900000, v[16:17]
	v_cmp_neq_f64_e64 vcc_lo, 0x7ff00000, |v[16:17]|
	v_cmp_ngt_f64_e64 s4, 0xc090cc00, v[16:17]
	v_add_f64_e64 v[12:13], v[12:13], -v[14:15]
	v_rndne_f64_e32 v[20:21], v[6:7]
	v_mov_b64_e32 v[6:7], 0x3e928af3fca7ab0c
	s_delay_alu instid0(VALU_DEP_3) | instskip(SKIP_1) | instid1(VALU_DEP_3)
	v_dual_cndmask_b32 v13, 0, v13 :: v_dual_cndmask_b32 v12, 0, v12
	s_and_b32 vcc_lo, s4, s3
	v_fmamk_f64 v[22:23], v[20:21], 0xbfe62e42fefa39ef, v[16:17]
	v_cvt_i32_f64_e32 v11, v[20:21]
	s_delay_alu instid0(VALU_DEP_2) | instskip(NEXT) | instid1(VALU_DEP_1)
	v_fmac_f64_e32 v[22:23], 0xbc7abc9e3b39803f, v[20:21]
	v_fmamk_f64 v[24:25], v[22:23], 0x3e5ade156a5dcb37, v[6:7]
	s_delay_alu instid0(VALU_DEP_1) | instskip(NEXT) | instid1(VALU_DEP_1)
	v_fmaak_f64 v[24:25], v[22:23], v[24:25], 0x3ec71dee623fde64
	v_fmaak_f64 v[24:25], v[22:23], v[24:25], 0x3efa01997c89e6b0
	s_delay_alu instid0(VALU_DEP_1) | instskip(NEXT) | instid1(VALU_DEP_1)
	v_fmaak_f64 v[24:25], v[22:23], v[24:25], 0x3f2a01a014761f6e
	v_fmaak_f64 v[24:25], v[22:23], v[24:25], 0x3f56c16c1852b7b0
	;; [unrolled: 3-line block ×4, first 2 shown]
	s_delay_alu instid0(VALU_DEP_1) | instskip(NEXT) | instid1(VALU_DEP_1)
	v_fma_f64 v[24:25], v[22:23], v[24:25], 1.0
	v_fma_f64 v[20:21], v[22:23], v[24:25], 1.0
	s_delay_alu instid0(VALU_DEP_1) | instskip(NEXT) | instid1(VALU_DEP_1)
	v_ldexp_f64 v[18:19], v[20:21], v11
	v_cndmask_b32_e64 v11, 0x7ff00000, v19, s3
	s_delay_alu instid0(VALU_DEP_2) | instskip(SKIP_1) | instid1(VALU_DEP_3)
	v_cndmask_b32_e32 v14, 0, v18, vcc_lo
	v_cmp_neq_f64_e64 s3, 0, v[4:5]
	v_cndmask_b32_e64 v15, 0, v11, s4
	s_delay_alu instid0(VALU_DEP_1) | instskip(SKIP_1) | instid1(VALU_DEP_2)
	v_fma_f64 v[12:13], v[14:15], v[12:13], v[14:15]
	v_cmp_class_f64_e64 vcc_lo, v[14:15], 0x204
	v_dual_cndmask_b32 v13, v13, v15 :: v_dual_cndmask_b32 v12, v12, v14
	v_cmp_neq_f64_e32 vcc_lo, 0x7ff00000, v[4:5]
	s_delay_alu instid0(VALU_DEP_2) | instskip(NEXT) | instid1(VALU_DEP_1)
	v_add_f64_e64 v[12:13], |v[12:13]|, 1.0
	v_cndmask_b32_e32 v11, 0x7ff00000, v13, vcc_lo
	s_and_b32 vcc_lo, s3, vcc_lo
	s_delay_alu instid0(VALU_DEP_2) | instskip(NEXT) | instid1(VALU_DEP_2)
	v_cndmask_b32_e32 v4, 0, v12, vcc_lo
	v_cndmask_b32_e64 v5, 0x3ff00000, v11, s3
	s_delay_alu instid0(VALU_DEP_1) | instskip(SKIP_1) | instid1(VALU_DEP_2)
	v_frexp_mant_f64_e64 v[12:13], |v[4:5]|
	v_cmp_eq_f64_e64 s5, 0, v[4:5]
	v_cmp_gt_f64_e32 vcc_lo, s[14:15], v[12:13]
	v_cndmask_b32_e64 v11, 0, 1, vcc_lo
	s_delay_alu instid0(VALU_DEP_1) | instskip(SKIP_1) | instid1(VALU_DEP_2)
	v_ldexp_f64 v[12:13], v[12:13], v11
	v_frexp_exp_i32_f64_e32 v11, v[4:5]
	v_add_f64_e32 v[14:15], 1.0, v[12:13]
	v_add_f64_e32 v[20:21], -1.0, v[12:13]
	s_delay_alu instid0(VALU_DEP_3) | instskip(SKIP_1) | instid1(VALU_DEP_4)
	v_subrev_co_ci_u32_e64 v11, null, 0, v11, vcc_lo
	v_cmp_eq_f64_e32 vcc_lo, 1.0, v[4:5]
	v_rcp_f64_e32 v[16:17], v[14:15]
	v_add_f64_e32 v[22:23], -1.0, v[14:15]
	s_delay_alu instid0(VALU_DEP_1) | instskip(NEXT) | instid1(TRANS32_DEP_1)
	v_add_f64_e64 v[12:13], v[12:13], -v[22:23]
	v_fma_f64 v[18:19], -v[14:15], v[16:17], 1.0
	s_delay_alu instid0(VALU_DEP_1) | instskip(NEXT) | instid1(VALU_DEP_1)
	v_fmac_f64_e32 v[16:17], v[18:19], v[16:17]
	v_fma_f64 v[18:19], -v[14:15], v[16:17], 1.0
	s_delay_alu instid0(VALU_DEP_1) | instskip(NEXT) | instid1(VALU_DEP_1)
	v_fmac_f64_e32 v[16:17], v[18:19], v[16:17]
	v_mul_f64_e32 v[18:19], v[20:21], v[16:17]
	s_delay_alu instid0(VALU_DEP_1) | instskip(NEXT) | instid1(VALU_DEP_1)
	v_mul_f64_e32 v[24:25], v[14:15], v[18:19]
	v_fma_f64 v[14:15], v[18:19], v[14:15], -v[24:25]
	s_delay_alu instid0(VALU_DEP_1) | instskip(NEXT) | instid1(VALU_DEP_1)
	v_fmac_f64_e32 v[14:15], v[18:19], v[12:13]
	v_add_f64_e32 v[12:13], v[24:25], v[14:15]
	s_delay_alu instid0(VALU_DEP_1) | instskip(SKIP_1) | instid1(VALU_DEP_2)
	v_add_f64_e64 v[22:23], v[20:21], -v[12:13]
	v_add_f64_e64 v[24:25], v[12:13], -v[24:25]
	;; [unrolled: 1-line block ×3, first 2 shown]
	s_delay_alu instid0(VALU_DEP_2) | instskip(NEXT) | instid1(VALU_DEP_2)
	v_add_f64_e64 v[14:15], v[24:25], -v[14:15]
	v_add_f64_e64 v[12:13], v[20:21], -v[12:13]
	s_delay_alu instid0(VALU_DEP_1) | instskip(NEXT) | instid1(VALU_DEP_1)
	v_add_f64_e32 v[12:13], v[14:15], v[12:13]
	v_add_f64_e32 v[12:13], v[22:23], v[12:13]
	v_mov_b64_e32 v[22:23], 0x3fbe25e43abe935a
	s_delay_alu instid0(VALU_DEP_2) | instskip(NEXT) | instid1(VALU_DEP_1)
	v_mul_f64_e32 v[12:13], v[16:17], v[12:13]
	v_add_f64_e32 v[14:15], v[18:19], v[12:13]
	s_delay_alu instid0(VALU_DEP_1) | instskip(SKIP_1) | instid1(VALU_DEP_2)
	v_add_f64_e64 v[16:17], v[14:15], -v[18:19]
	v_mul_f64_e32 v[18:19], v[14:15], v[14:15]
	v_add_f64_e64 v[12:13], v[12:13], -v[16:17]
	s_delay_alu instid0(VALU_DEP_2) | instskip(NEXT) | instid1(VALU_DEP_2)
	v_fma_f64 v[16:17], v[14:15], v[14:15], -v[18:19]
	v_add_f64_e32 v[20:21], v[12:13], v[12:13]
	s_delay_alu instid0(VALU_DEP_1) | instskip(NEXT) | instid1(VALU_DEP_1)
	v_fmac_f64_e32 v[16:17], v[14:15], v[20:21]
	v_add_f64_e32 v[20:21], v[18:19], v[16:17]
	s_delay_alu instid0(VALU_DEP_1) | instskip(SKIP_1) | instid1(VALU_DEP_2)
	v_fmac_f64_e32 v[8:9], 0x3fbdee674222de17, v[20:21]
	v_mul_f64_e32 v[26:27], v[14:15], v[20:21]
	v_fmac_f64_e32 v[22:23], v[20:21], v[8:9]
	v_mov_b64_e32 v[8:9], 0x3fc110ef47e6c9c2
	s_delay_alu instid0(VALU_DEP_1) | instskip(SKIP_1) | instid1(VALU_DEP_1)
	v_fmac_f64_e32 v[8:9], v[20:21], v[22:23]
	v_mov_b64_e32 v[22:23], 0x3fc3b13bcfa74449
	v_fmac_f64_e32 v[22:23], v[20:21], v[8:9]
	v_mov_b64_e32 v[8:9], 0x3fc745d171bf3c30
	s_delay_alu instid0(VALU_DEP_1) | instskip(SKIP_1) | instid1(VALU_DEP_1)
	v_fmac_f64_e32 v[8:9], v[20:21], v[22:23]
	v_mov_b64_e32 v[22:23], 0x3fcc71c71c7792ce
	;; [unrolled: 5-line block ×3, first 2 shown]
	v_fmac_f64_e32 v[22:23], v[20:21], v[8:9]
	v_add_f64_e64 v[8:9], v[20:21], -v[18:19]
	s_delay_alu instid0(VALU_DEP_2) | instskip(NEXT) | instid1(VALU_DEP_2)
	v_mul_f64_e32 v[18:19], v[20:21], v[22:23]
	v_add_f64_e64 v[8:9], v[16:17], -v[8:9]
	s_delay_alu instid0(VALU_DEP_2) | instskip(NEXT) | instid1(VALU_DEP_1)
	v_fma_f64 v[16:17], v[20:21], v[22:23], -v[18:19]
	v_fmac_f64_e32 v[16:17], v[8:9], v[22:23]
	s_delay_alu instid0(VALU_DEP_1) | instskip(NEXT) | instid1(VALU_DEP_1)
	v_add_f64_e32 v[22:23], v[18:19], v[16:17]
	v_add_f64_e32 v[24:25], 0x3fe5555555555555, v[22:23]
	v_add_f64_e64 v[18:19], v[22:23], -v[18:19]
	s_delay_alu instid0(VALU_DEP_2) | instskip(NEXT) | instid1(VALU_DEP_2)
	v_add_f64_e32 v[28:29], 0xbfe5555555555555, v[24:25]
	v_add_f64_e64 v[16:17], v[16:17], -v[18:19]
	v_fma_f64 v[18:19], v[20:21], v[14:15], -v[26:27]
	s_delay_alu instid0(VALU_DEP_3) | instskip(NEXT) | instid1(VALU_DEP_3)
	v_add_f64_e64 v[22:23], v[22:23], -v[28:29]
	v_add_f64_e32 v[16:17], 0x3c8543b0d5df274d, v[16:17]
	s_delay_alu instid0(VALU_DEP_3) | instskip(SKIP_1) | instid1(VALU_DEP_3)
	v_fmac_f64_e32 v[18:19], v[20:21], v[12:13]
	v_ldexp_f64 v[12:13], v[12:13], 1
	v_add_f64_e32 v[16:17], v[16:17], v[22:23]
	s_delay_alu instid0(VALU_DEP_3) | instskip(NEXT) | instid1(VALU_DEP_2)
	v_fmac_f64_e32 v[18:19], v[8:9], v[14:15]
	v_add_f64_e32 v[8:9], v[24:25], v[16:17]
	s_delay_alu instid0(VALU_DEP_2) | instskip(NEXT) | instid1(VALU_DEP_2)
	v_add_f64_e32 v[20:21], v[26:27], v[18:19]
	v_add_f64_e64 v[22:23], v[24:25], -v[8:9]
	s_delay_alu instid0(VALU_DEP_2) | instskip(SKIP_1) | instid1(VALU_DEP_3)
	v_mul_f64_e32 v[24:25], v[20:21], v[8:9]
	v_add_f64_e64 v[26:27], v[20:21], -v[26:27]
	v_add_f64_e32 v[16:17], v[16:17], v[22:23]
	s_delay_alu instid0(VALU_DEP_3) | instskip(NEXT) | instid1(VALU_DEP_3)
	v_fma_f64 v[22:23], v[20:21], v[8:9], -v[24:25]
	v_add_f64_e64 v[18:19], v[18:19], -v[26:27]
	s_delay_alu instid0(VALU_DEP_2) | instskip(SKIP_3) | instid1(VALU_DEP_4)
	v_fmac_f64_e32 v[22:23], v[20:21], v[16:17]
	v_cvt_f64_i32_e32 v[16:17], v11
	v_cndmask_b32_e32 v11, 0x3fdc71c7, v10, vcc_lo
	v_cndmask_b32_e64 v10, 0x1c71c71d, 0, vcc_lo
	v_fmac_f64_e32 v[22:23], v[18:19], v[8:9]
	v_ldexp_f64 v[8:9], v[14:15], 1
	s_delay_alu instid0(VALU_DEP_2) | instskip(NEXT) | instid1(VALU_DEP_1)
	v_add_f64_e32 v[14:15], v[24:25], v[22:23]
	v_add_f64_e32 v[18:19], v[8:9], v[14:15]
	v_add_f64_e64 v[20:21], v[14:15], -v[24:25]
	v_mul_f64_e32 v[24:25], 0x3fe62e42fefa39ef, v[16:17]
	s_delay_alu instid0(VALU_DEP_3) | instskip(NEXT) | instid1(VALU_DEP_3)
	v_add_f64_e64 v[8:9], v[18:19], -v[8:9]
	v_add_f64_e64 v[20:21], v[22:23], -v[20:21]
	s_delay_alu instid0(VALU_DEP_3) | instskip(SKIP_1) | instid1(VALU_DEP_4)
	v_fma_f64 v[22:23], v[16:17], s[6:7], -v[24:25]
	v_cmp_class_f64_e64 s6, v[4:5], 0x204
	v_add_f64_e64 v[8:9], v[14:15], -v[8:9]
	s_delay_alu instid0(VALU_DEP_4) | instskip(NEXT) | instid1(VALU_DEP_4)
	v_add_f64_e32 v[12:13], v[12:13], v[20:21]
	v_fmac_f64_e32 v[22:23], 0x3c7abc9e3b39803f, v[16:17]
	s_delay_alu instid0(VALU_DEP_2) | instskip(NEXT) | instid1(VALU_DEP_2)
	v_add_f64_e32 v[8:9], v[12:13], v[8:9]
	v_add_f64_e32 v[12:13], v[24:25], v[22:23]
	s_delay_alu instid0(VALU_DEP_2) | instskip(NEXT) | instid1(VALU_DEP_2)
	v_add_f64_e32 v[14:15], v[18:19], v[8:9]
	v_add_f64_e64 v[24:25], v[12:13], -v[24:25]
	s_delay_alu instid0(VALU_DEP_2) | instskip(SKIP_1) | instid1(VALU_DEP_3)
	v_add_f64_e32 v[16:17], v[12:13], v[14:15]
	v_add_f64_e64 v[18:19], v[14:15], -v[18:19]
	v_add_f64_e64 v[22:23], v[22:23], -v[24:25]
	s_delay_alu instid0(VALU_DEP_3) | instskip(NEXT) | instid1(VALU_DEP_3)
	v_add_f64_e64 v[20:21], v[16:17], -v[12:13]
	v_add_f64_e64 v[8:9], v[8:9], -v[18:19]
	s_delay_alu instid0(VALU_DEP_2) | instskip(SKIP_1) | instid1(VALU_DEP_3)
	v_add_f64_e64 v[26:27], v[16:17], -v[20:21]
	v_add_f64_e64 v[14:15], v[14:15], -v[20:21]
	v_add_f64_e32 v[18:19], v[22:23], v[8:9]
	s_delay_alu instid0(VALU_DEP_3) | instskip(NEXT) | instid1(VALU_DEP_1)
	v_add_f64_e64 v[12:13], v[12:13], -v[26:27]
	v_add_f64_e32 v[12:13], v[14:15], v[12:13]
	s_delay_alu instid0(VALU_DEP_3) | instskip(NEXT) | instid1(VALU_DEP_2)
	v_add_f64_e64 v[14:15], v[18:19], -v[22:23]
	v_add_f64_e32 v[12:13], v[18:19], v[12:13]
	s_delay_alu instid0(VALU_DEP_2) | instskip(SKIP_1) | instid1(VALU_DEP_3)
	v_add_f64_e64 v[18:19], v[18:19], -v[14:15]
	v_add_f64_e64 v[8:9], v[8:9], -v[14:15]
	v_add_f64_e32 v[20:21], v[16:17], v[12:13]
	s_delay_alu instid0(VALU_DEP_3) | instskip(SKIP_1) | instid1(VALU_DEP_3)
	v_add_f64_e64 v[14:15], v[22:23], -v[18:19]
	v_mov_b64_e32 v[22:23], 0x3ec71dee623fde64
	v_add_f64_e64 v[16:17], v[20:21], -v[16:17]
	s_delay_alu instid0(VALU_DEP_3) | instskip(NEXT) | instid1(VALU_DEP_2)
	v_add_f64_e32 v[8:9], v[8:9], v[14:15]
	v_add_f64_e64 v[12:13], v[12:13], -v[16:17]
	s_delay_alu instid0(VALU_DEP_1) | instskip(NEXT) | instid1(VALU_DEP_1)
	v_add_f64_e32 v[8:9], v[8:9], v[12:13]
	v_add_f64_e32 v[12:13], v[20:21], v[8:9]
	s_delay_alu instid0(VALU_DEP_1) | instskip(SKIP_1) | instid1(VALU_DEP_2)
	v_add_f64_e64 v[14:15], v[12:13], -v[20:21]
	v_mul_f64_e32 v[16:17], v[10:11], v[12:13]
	v_add_f64_e64 v[8:9], v[8:9], -v[14:15]
	s_delay_alu instid0(VALU_DEP_2) | instskip(SKIP_1) | instid1(VALU_DEP_2)
	v_fma_f64 v[12:13], v[10:11], v[12:13], -v[16:17]
	v_cmp_class_f64_e64 vcc_lo, v[16:17], 0x204
	v_fmac_f64_e32 v[12:13], v[10:11], v[8:9]
	s_delay_alu instid0(VALU_DEP_1) | instskip(NEXT) | instid1(VALU_DEP_1)
	v_add_f64_e32 v[8:9], v[16:17], v[12:13]
	v_dual_cndmask_b32 v15, v9, v17 :: v_dual_cndmask_b32 v14, v8, v16
	v_add_f64_e64 v[8:9], v[8:9], -v[16:17]
	v_mul_f64_e32 v[16:17], 0.5, v[10:11]
	s_delay_alu instid0(VALU_DEP_3)
	v_mul_f64_e32 v[18:19], 0x3ff71547652b82fe, v[14:15]
	v_cmp_nlt_f64_e64 s3, 0x40900000, v[14:15]
	v_cmp_neq_f64_e64 vcc_lo, 0x7ff00000, |v[14:15]|
	v_cmp_ngt_f64_e64 s4, 0xc090cc00, v[14:15]
	v_add_f64_e64 v[8:9], v[12:13], -v[8:9]
	v_trunc_f64_e32 v[12:13], v[10:11]
	v_rndne_f64_e32 v[18:19], v[18:19]
	s_delay_alu instid0(VALU_DEP_3) | instskip(SKIP_1) | instid1(VALU_DEP_2)
	v_dual_cndmask_b32 v9, 0, v9 :: v_dual_cndmask_b32 v8, 0, v8
	s_and_b32 vcc_lo, s4, s3
	v_fmamk_f64 v[20:21], v[18:19], 0xbfe62e42fefa39ef, v[14:15]
	v_trunc_f64_e32 v[14:15], v[16:17]
	s_delay_alu instid0(VALU_DEP_2) | instskip(SKIP_1) | instid1(VALU_DEP_2)
	v_fmac_f64_e32 v[20:21], 0xbc7abc9e3b39803f, v[18:19]
	v_cvt_i32_f64_e32 v18, v[18:19]
	v_fmac_f64_e32 v[6:7], 0x3e5ade156a5dcb37, v[20:21]
	s_delay_alu instid0(VALU_DEP_1) | instskip(SKIP_1) | instid1(VALU_DEP_1)
	v_fmac_f64_e32 v[22:23], v[20:21], v[6:7]
	v_mov_b64_e32 v[6:7], 0x3efa01997c89e6b0
	v_fmac_f64_e32 v[6:7], v[20:21], v[22:23]
	v_mov_b64_e32 v[22:23], 0x3f2a01a014761f6e
	s_delay_alu instid0(VALU_DEP_1) | instskip(SKIP_1) | instid1(VALU_DEP_1)
	v_fmac_f64_e32 v[22:23], v[20:21], v[6:7]
	v_mov_b64_e32 v[6:7], 0x3f56c16c1852b7b0
	v_fmac_f64_e32 v[6:7], v[20:21], v[22:23]
	v_mov_b64_e32 v[22:23], 0x3f81111111122322
	;; [unrolled: 5-line block ×3, first 2 shown]
	s_delay_alu instid0(VALU_DEP_1) | instskip(SKIP_1) | instid1(VALU_DEP_1)
	v_fmac_f64_e32 v[22:23], v[20:21], v[6:7]
	v_mov_b64_e32 v[6:7], 0x3fe000000000000b
	v_fmac_f64_e32 v[6:7], v[20:21], v[22:23]
	s_delay_alu instid0(VALU_DEP_1) | instskip(NEXT) | instid1(VALU_DEP_1)
	v_fma_f64 v[6:7], v[20:21], v[6:7], 1.0
	v_fma_f64 v[6:7], v[20:21], v[6:7], 1.0
	s_delay_alu instid0(VALU_DEP_1) | instskip(NEXT) | instid1(VALU_DEP_1)
	v_ldexp_f64 v[6:7], v[6:7], v18
	v_cndmask_b32_e64 v7, 0x7ff00000, v7, s3
	s_delay_alu instid0(VALU_DEP_2) | instskip(SKIP_4) | instid1(VALU_DEP_1)
	v_cndmask_b32_e32 v6, 0, v6, vcc_lo
	v_cmp_eq_f64_e32 vcc_lo, v[12:13], v[10:11]
	v_cmp_neq_f64_e64 s3, v[14:15], v[16:17]
	v_cndmask_b32_e64 v10, 0x7ff00000, 0, s5
	v_cndmask_b32_e64 v7, 0, v7, s4
	v_fma_f64 v[8:9], v[6:7], v[8:9], v[6:7]
	v_cmp_class_f64_e64 s4, v[6:7], 0x204
	s_and_b32 vcc_lo, vcc_lo, s3
	v_cndmask_b32_e32 v11, 0x3ff00000, v5, vcc_lo
	v_cndmask_b32_e32 v12, 0, v5, vcc_lo
	s_or_b32 vcc_lo, s5, s6
	v_dual_cndmask_b32 v7, v9, v7, s4 :: v_dual_cndmask_b32 v6, v8, v6, s4
	s_delay_alu instid0(VALU_DEP_2) | instskip(SKIP_1) | instid1(VALU_DEP_2)
	v_bfi_b32 v8, 0x7fffffff, v10, v12
	s_mov_b64 s[4:5], 0x3fd6666666666666
	v_bfi_b32 v7, 0x7fffffff, v7, v11
	s_delay_alu instid0(VALU_DEP_3) | instskip(NEXT) | instid1(VALU_DEP_2)
	v_cndmask_b32_e64 v6, v6, 0, vcc_lo
	v_cndmask_b32_e32 v7, v7, v8, vcc_lo
	s_delay_alu instid0(VALU_DEP_1) | instskip(SKIP_1) | instid1(VALU_DEP_2)
	v_div_scale_f64 v[8:9], null, v[6:7], v[6:7], s[4:5]
	v_div_scale_f64 v[14:15], vcc_lo, s[4:5], v[6:7], s[4:5]
	v_rcp_f64_e32 v[10:11], v[8:9]
	v_nop
	s_delay_alu instid0(TRANS32_DEP_1) | instskip(NEXT) | instid1(VALU_DEP_1)
	v_fma_f64 v[12:13], -v[8:9], v[10:11], 1.0
	v_fmac_f64_e32 v[10:11], v[10:11], v[12:13]
	s_delay_alu instid0(VALU_DEP_1) | instskip(NEXT) | instid1(VALU_DEP_1)
	v_fma_f64 v[12:13], -v[8:9], v[10:11], 1.0
	v_fmac_f64_e32 v[10:11], v[10:11], v[12:13]
	s_delay_alu instid0(VALU_DEP_1) | instskip(NEXT) | instid1(VALU_DEP_1)
	v_mul_f64_e32 v[12:13], v[14:15], v[10:11]
	v_fma_f64 v[8:9], -v[8:9], v[12:13], v[14:15]
	s_delay_alu instid0(VALU_DEP_1) | instskip(SKIP_1) | instid1(VALU_DEP_2)
	v_div_fmas_f64 v[8:9], v[8:9], v[10:11], v[12:13]
	v_cmp_o_f64_e32 vcc_lo, v[4:5], v[4:5]
	v_div_fixup_f64 v[6:7], v[8:9], v[6:7], s[4:5]
	s_delay_alu instid0(VALU_DEP_1) | instskip(NEXT) | instid1(VALU_DEP_1)
	v_add_f64_e32 v[6:7], 0x3fb999999999999a, v[6:7]
	v_cndmask_b32_e32 v25, 0x7ff80000, v7, vcc_lo
	s_delay_alu instid0(VALU_DEP_2)
	v_cndmask_b32_e32 v24, 0, v6, vcc_lo
.LBB0_3:
	s_or_b32 exec_lo, exec_lo, s16
	s_delay_alu instid0(VALU_DEP_1) | instskip(SKIP_4) | instid1(VALU_DEP_1)
	v_add_f64_e32 v[4:5], 0xbfb999999999999a, v[24:25]
	s_mov_b64 s[4:5], 0x3fd6666666666666
	s_mov_b64 s[6:7], 0x3fe5555555555555
	;; [unrolled: 1-line block ×3, first 2 shown]
	v_lshlrev_b64_e32 v[40:41], 3, v[0:1]
	v_add_nc_u64_e32 v[46:47], s[8:9], v[40:41]
	v_add_nc_u64_e32 v[48:49], s[10:11], v[40:41]
	s_delay_alu instid0(VALU_DEP_4) | instskip(SKIP_1) | instid1(VALU_DEP_2)
	v_div_scale_f64 v[6:7], null, s[4:5], s[4:5], v[4:5]
	v_div_scale_f64 v[12:13], vcc_lo, v[4:5], s[4:5], v[4:5]
	v_rcp_f64_e32 v[8:9], v[6:7]
	v_nop
	s_delay_alu instid0(TRANS32_DEP_1) | instskip(NEXT) | instid1(VALU_DEP_1)
	v_fma_f64 v[10:11], -v[6:7], v[8:9], 1.0
	v_fmac_f64_e32 v[8:9], v[8:9], v[10:11]
	s_delay_alu instid0(VALU_DEP_1) | instskip(NEXT) | instid1(VALU_DEP_1)
	v_fma_f64 v[10:11], -v[6:7], v[8:9], 1.0
	v_fmac_f64_e32 v[8:9], v[8:9], v[10:11]
	s_delay_alu instid0(VALU_DEP_1) | instskip(NEXT) | instid1(VALU_DEP_1)
	v_mul_f64_e32 v[10:11], v[12:13], v[8:9]
	v_fma_f64 v[6:7], -v[6:7], v[10:11], v[12:13]
	s_delay_alu instid0(VALU_DEP_1) | instskip(NEXT) | instid1(VALU_DEP_1)
	v_div_fmas_f64 v[6:7], v[6:7], v[8:9], v[10:11]
	v_div_fixup_f64 v[8:9], v[6:7], s[4:5], v[4:5]
	v_mov_b32_e32 v42, 0x3ff00000
	s_delay_alu instid0(VALU_DEP_2) | instskip(SKIP_1) | instid1(VALU_DEP_2)
	v_frexp_mant_f64_e64 v[4:5], |v[8:9]|
	v_cmp_class_f64_e64 s5, v[8:9], 0x204
	v_cmp_gt_f64_e32 vcc_lo, s[6:7], v[4:5]
	v_cndmask_b32_e64 v6, 0, 1, vcc_lo
	s_delay_alu instid0(VALU_DEP_1) | instskip(NEXT) | instid1(VALU_DEP_1)
	v_ldexp_f64 v[4:5], v[4:5], v6
	v_add_f64_e32 v[6:7], 1.0, v[4:5]
	v_add_f64_e32 v[14:15], -1.0, v[4:5]
	s_delay_alu instid0(VALU_DEP_2) | instskip(SKIP_1) | instid1(VALU_DEP_1)
	v_rcp_f64_e32 v[10:11], v[6:7]
	v_add_f64_e32 v[16:17], -1.0, v[6:7]
	v_add_f64_e64 v[4:5], v[4:5], -v[16:17]
	s_delay_alu instid0(TRANS32_DEP_1) | instskip(NEXT) | instid1(VALU_DEP_1)
	v_fma_f64 v[12:13], -v[6:7], v[10:11], 1.0
	v_fmac_f64_e32 v[10:11], v[12:13], v[10:11]
	s_delay_alu instid0(VALU_DEP_1) | instskip(NEXT) | instid1(VALU_DEP_1)
	v_fma_f64 v[12:13], -v[6:7], v[10:11], 1.0
	v_fmac_f64_e32 v[10:11], v[12:13], v[10:11]
	s_delay_alu instid0(VALU_DEP_1) | instskip(NEXT) | instid1(VALU_DEP_1)
	v_mul_f64_e32 v[12:13], v[14:15], v[10:11]
	v_mul_f64_e32 v[18:19], v[6:7], v[12:13]
	s_delay_alu instid0(VALU_DEP_1) | instskip(NEXT) | instid1(VALU_DEP_1)
	v_fma_f64 v[6:7], v[12:13], v[6:7], -v[18:19]
	v_fmac_f64_e32 v[6:7], v[12:13], v[4:5]
	s_delay_alu instid0(VALU_DEP_1) | instskip(NEXT) | instid1(VALU_DEP_1)
	v_add_f64_e32 v[4:5], v[18:19], v[6:7]
	v_add_f64_e64 v[16:17], v[14:15], -v[4:5]
	v_add_f64_e64 v[18:19], v[4:5], -v[18:19]
	s_delay_alu instid0(VALU_DEP_2) | instskip(NEXT) | instid1(VALU_DEP_2)
	v_add_f64_e64 v[14:15], v[14:15], -v[16:17]
	v_add_f64_e64 v[6:7], v[18:19], -v[6:7]
	s_delay_alu instid0(VALU_DEP_2) | instskip(NEXT) | instid1(VALU_DEP_1)
	v_add_f64_e64 v[4:5], v[14:15], -v[4:5]
	v_add_f64_e32 v[4:5], v[6:7], v[4:5]
	s_delay_alu instid0(VALU_DEP_1) | instskip(NEXT) | instid1(VALU_DEP_1)
	v_add_f64_e32 v[4:5], v[16:17], v[4:5]
	v_mul_f64_e32 v[4:5], v[10:11], v[4:5]
	s_delay_alu instid0(VALU_DEP_1) | instskip(NEXT) | instid1(VALU_DEP_1)
	v_add_f64_e32 v[10:11], v[12:13], v[4:5]
	v_add_f64_e64 v[6:7], v[10:11], -v[12:13]
	v_mul_f64_e32 v[12:13], v[10:11], v[10:11]
	s_delay_alu instid0(VALU_DEP_2) | instskip(NEXT) | instid1(VALU_DEP_2)
	v_add_f64_e64 v[4:5], v[4:5], -v[6:7]
	v_fma_f64 v[14:15], v[10:11], v[10:11], -v[12:13]
	s_delay_alu instid0(VALU_DEP_2) | instskip(NEXT) | instid1(VALU_DEP_1)
	v_add_f64_e32 v[6:7], v[4:5], v[4:5]
	v_fmac_f64_e32 v[14:15], v[10:11], v[6:7]
	v_mov_b64_e32 v[6:7], 0x3fba6564968915a9
	s_delay_alu instid0(VALU_DEP_2) | instskip(NEXT) | instid1(VALU_DEP_1)
	v_add_f64_e32 v[16:17], v[12:13], v[14:15]
	v_fmamk_f64 v[18:19], v[16:17], 0x3fbdee674222de17, v[6:7]
	v_add_f64_e64 v[12:13], v[16:17], -v[12:13]
	v_mul_f64_e32 v[26:27], v[10:11], v[16:17]
	s_delay_alu instid0(VALU_DEP_3) | instskip(NEXT) | instid1(VALU_DEP_1)
	v_fmaak_f64 v[18:19], v[16:17], v[18:19], 0x3fbe25e43abe935a
	v_fmaak_f64 v[18:19], v[16:17], v[18:19], 0x3fc110ef47e6c9c2
	s_delay_alu instid0(VALU_DEP_1) | instskip(NEXT) | instid1(VALU_DEP_1)
	v_fmaak_f64 v[18:19], v[16:17], v[18:19], 0x3fc3b13bcfa74449
	v_fmaak_f64 v[18:19], v[16:17], v[18:19], 0x3fc745d171bf3c30
	v_add_f64_e64 v[12:13], v[14:15], -v[12:13]
	s_delay_alu instid0(VALU_DEP_2) | instskip(NEXT) | instid1(VALU_DEP_1)
	v_fmaak_f64 v[18:19], v[16:17], v[18:19], 0x3fcc71c71c7792ce
	v_fmaak_f64 v[18:19], v[16:17], v[18:19], 0x3fd24924924920da
	s_delay_alu instid0(VALU_DEP_1) | instskip(NEXT) | instid1(VALU_DEP_1)
	v_fmaak_f64 v[18:19], v[16:17], v[18:19], 0x3fd999999999999c
	v_mul_f64_e32 v[20:21], v[16:17], v[18:19]
	s_delay_alu instid0(VALU_DEP_1) | instskip(NEXT) | instid1(VALU_DEP_1)
	v_fma_f64 v[14:15], v[16:17], v[18:19], -v[20:21]
	v_fmac_f64_e32 v[14:15], v[12:13], v[18:19]
	s_delay_alu instid0(VALU_DEP_1) | instskip(NEXT) | instid1(VALU_DEP_1)
	v_add_f64_e32 v[18:19], v[20:21], v[14:15]
	v_add_f64_e32 v[22:23], 0x3fe5555555555555, v[18:19]
	v_add_f64_e64 v[20:21], v[18:19], -v[20:21]
	s_delay_alu instid0(VALU_DEP_2) | instskip(NEXT) | instid1(VALU_DEP_2)
	v_add_f64_e32 v[28:29], 0xbfe5555555555555, v[22:23]
	v_add_f64_e64 v[14:15], v[14:15], -v[20:21]
	v_fma_f64 v[20:21], v[16:17], v[10:11], -v[26:27]
	s_delay_alu instid0(VALU_DEP_3) | instskip(NEXT) | instid1(VALU_DEP_3)
	v_add_f64_e64 v[18:19], v[18:19], -v[28:29]
	v_add_f64_e32 v[14:15], 0x3c8543b0d5df274d, v[14:15]
	s_delay_alu instid0(VALU_DEP_3) | instskip(SKIP_1) | instid1(VALU_DEP_3)
	v_fmac_f64_e32 v[20:21], v[16:17], v[4:5]
	v_ldexp_f64 v[4:5], v[4:5], 1
	v_add_f64_e32 v[14:15], v[14:15], v[18:19]
	s_delay_alu instid0(VALU_DEP_3) | instskip(SKIP_1) | instid1(VALU_DEP_3)
	v_fmac_f64_e32 v[20:21], v[12:13], v[10:11]
	v_ldexp_f64 v[10:11], v[10:11], 1
	v_add_f64_e32 v[12:13], v[22:23], v[14:15]
	s_delay_alu instid0(VALU_DEP_3) | instskip(NEXT) | instid1(VALU_DEP_2)
	v_add_f64_e32 v[16:17], v[26:27], v[20:21]
	v_add_f64_e64 v[18:19], v[22:23], -v[12:13]
	s_delay_alu instid0(VALU_DEP_2) | instskip(SKIP_1) | instid1(VALU_DEP_3)
	v_mul_f64_e32 v[22:23], v[16:17], v[12:13]
	v_add_f64_e64 v[26:27], v[16:17], -v[26:27]
	v_add_f64_e32 v[14:15], v[14:15], v[18:19]
	s_delay_alu instid0(VALU_DEP_3) | instskip(NEXT) | instid1(VALU_DEP_3)
	v_fma_f64 v[18:19], v[16:17], v[12:13], -v[22:23]
	v_add_f64_e64 v[20:21], v[20:21], -v[26:27]
	s_delay_alu instid0(VALU_DEP_2) | instskip(SKIP_1) | instid1(VALU_DEP_2)
	v_fmac_f64_e32 v[18:19], v[16:17], v[14:15]
	v_frexp_exp_i32_f64_e32 v14, v[8:9]
	v_fmac_f64_e32 v[18:19], v[20:21], v[12:13]
	s_delay_alu instid0(VALU_DEP_2) | instskip(SKIP_1) | instid1(VALU_DEP_2)
	v_subrev_co_ci_u32_e64 v14, null, 0, v14, vcc_lo
	v_cmp_eq_f64_e32 vcc_lo, 1.0, v[8:9]
	v_cvt_f64_i32_e32 v[14:15], v14
	s_delay_alu instid0(VALU_DEP_4) | instskip(NEXT) | instid1(VALU_DEP_1)
	v_add_f64_e32 v[12:13], v[22:23], v[18:19]
	v_add_f64_e32 v[16:17], v[10:11], v[12:13]
	v_add_f64_e64 v[20:21], v[12:13], -v[22:23]
	s_delay_alu instid0(VALU_DEP_4) | instskip(NEXT) | instid1(VALU_DEP_3)
	v_mul_f64_e32 v[22:23], 0x3fe62e42fefa39ef, v[14:15]
	v_add_f64_e64 v[10:11], v[16:17], -v[10:11]
	s_delay_alu instid0(VALU_DEP_3) | instskip(NEXT) | instid1(VALU_DEP_3)
	v_add_f64_e64 v[18:19], v[18:19], -v[20:21]
	v_fma_f64 v[20:21], v[14:15], s[14:15], -v[22:23]
	s_delay_alu instid0(VALU_DEP_3) | instskip(NEXT) | instid1(VALU_DEP_3)
	v_add_f64_e64 v[10:11], v[12:13], -v[10:11]
	v_add_f64_e32 v[4:5], v[4:5], v[18:19]
	s_delay_alu instid0(VALU_DEP_3) | instskip(NEXT) | instid1(VALU_DEP_2)
	v_fmac_f64_e32 v[20:21], 0x3c7abc9e3b39803f, v[14:15]
	v_add_f64_e32 v[4:5], v[4:5], v[10:11]
	s_delay_alu instid0(VALU_DEP_2) | instskip(NEXT) | instid1(VALU_DEP_2)
	v_add_f64_e32 v[10:11], v[22:23], v[20:21]
	v_add_f64_e32 v[12:13], v[16:17], v[4:5]
	s_delay_alu instid0(VALU_DEP_2) | instskip(NEXT) | instid1(VALU_DEP_2)
	v_add_f64_e64 v[22:23], v[10:11], -v[22:23]
	v_add_f64_e32 v[14:15], v[10:11], v[12:13]
	v_add_f64_e64 v[16:17], v[12:13], -v[16:17]
	s_delay_alu instid0(VALU_DEP_3) | instskip(NEXT) | instid1(VALU_DEP_3)
	v_add_f64_e64 v[20:21], v[20:21], -v[22:23]
	v_add_f64_e64 v[18:19], v[14:15], -v[10:11]
	s_delay_alu instid0(VALU_DEP_3) | instskip(NEXT) | instid1(VALU_DEP_2)
	v_add_f64_e64 v[4:5], v[4:5], -v[16:17]
	v_add_f64_e64 v[26:27], v[14:15], -v[18:19]
	;; [unrolled: 1-line block ×3, first 2 shown]
	s_delay_alu instid0(VALU_DEP_3) | instskip(NEXT) | instid1(VALU_DEP_3)
	v_add_f64_e32 v[16:17], v[20:21], v[4:5]
	v_add_f64_e64 v[10:11], v[10:11], -v[26:27]
	s_delay_alu instid0(VALU_DEP_1) | instskip(NEXT) | instid1(VALU_DEP_3)
	v_add_f64_e32 v[10:11], v[12:13], v[10:11]
	v_add_f64_e64 v[12:13], v[16:17], -v[20:21]
	s_delay_alu instid0(VALU_DEP_2) | instskip(NEXT) | instid1(VALU_DEP_2)
	v_add_f64_e32 v[10:11], v[16:17], v[10:11]
	v_add_f64_e64 v[16:17], v[16:17], -v[12:13]
	v_add_f64_e64 v[4:5], v[4:5], -v[12:13]
	s_delay_alu instid0(VALU_DEP_3) | instskip(NEXT) | instid1(VALU_DEP_3)
	v_add_f64_e32 v[18:19], v[14:15], v[10:11]
	v_add_f64_e64 v[12:13], v[20:21], -v[16:17]
	s_delay_alu instid0(VALU_DEP_2) | instskip(NEXT) | instid1(VALU_DEP_2)
	v_add_f64_e64 v[14:15], v[18:19], -v[14:15]
	v_dual_add_f64 v[4:5], v[4:5], v[12:13] :: v_dual_mov_b32 v12, 0
	v_cndmask_b32_e32 v13, 0x40020000, v42, vcc_lo
	s_delay_alu instid0(VALU_DEP_3) | instskip(NEXT) | instid1(VALU_DEP_1)
	v_add_f64_e64 v[10:11], v[10:11], -v[14:15]
	v_add_f64_e32 v[4:5], v[4:5], v[10:11]
	s_delay_alu instid0(VALU_DEP_1) | instskip(NEXT) | instid1(VALU_DEP_1)
	v_add_f64_e32 v[10:11], v[18:19], v[4:5]
	v_add_f64_e64 v[14:15], v[10:11], -v[18:19]
	v_mul_f64_e32 v[16:17], v[12:13], v[10:11]
	s_delay_alu instid0(VALU_DEP_2) | instskip(NEXT) | instid1(VALU_DEP_2)
	v_add_f64_e64 v[4:5], v[4:5], -v[14:15]
	v_fma_f64 v[10:11], v[12:13], v[10:11], -v[16:17]
	v_cmp_class_f64_e64 vcc_lo, v[16:17], 0x204
	s_delay_alu instid0(VALU_DEP_2) | instskip(NEXT) | instid1(VALU_DEP_1)
	v_fmac_f64_e32 v[10:11], v[12:13], v[4:5]
	v_add_f64_e32 v[14:15], v[16:17], v[10:11]
	s_delay_alu instid0(VALU_DEP_1) | instskip(SKIP_1) | instid1(VALU_DEP_2)
	v_dual_cndmask_b32 v19, v15, v17 :: v_dual_cndmask_b32 v18, v14, v16
	v_add_f64_e64 v[14:15], v[14:15], -v[16:17]
	v_mul_f64_e32 v[4:5], 0x3ff71547652b82fe, v[18:19]
	v_cmp_nlt_f64_e64 s3, 0x40900000, v[18:19]
	v_cmp_neq_f64_e64 vcc_lo, 0x7ff00000, |v[18:19]|
	v_cmp_ngt_f64_e64 s4, 0xc090cc00, v[18:19]
	v_add_f64_e64 v[10:11], v[10:11], -v[14:15]
	v_mul_f64_e32 v[14:15], 0.5, v[12:13]
	v_rndne_f64_e32 v[20:21], v[4:5]
	v_mov_b64_e32 v[4:5], 0x3e928af3fca7ab0c
	s_delay_alu instid0(VALU_DEP_4) | instskip(SKIP_1) | instid1(VALU_DEP_3)
	v_dual_cndmask_b32 v11, 0, v11 :: v_dual_cndmask_b32 v10, 0, v10
	s_and_b32 vcc_lo, s4, s3
	v_fmamk_f64 v[22:23], v[20:21], 0xbfe62e42fefa39ef, v[18:19]
	v_cvt_i32_f64_e32 v28, v[20:21]
	v_trunc_f64_e32 v[18:19], v[14:15]
	s_delay_alu instid0(VALU_DEP_3) | instskip(NEXT) | instid1(VALU_DEP_1)
	v_fmac_f64_e32 v[22:23], 0xbc7abc9e3b39803f, v[20:21]
	v_fmamk_f64 v[26:27], v[22:23], 0x3e5ade156a5dcb37, v[4:5]
	s_delay_alu instid0(VALU_DEP_1) | instskip(NEXT) | instid1(VALU_DEP_1)
	v_fmaak_f64 v[26:27], v[22:23], v[26:27], 0x3ec71dee623fde64
	v_fmaak_f64 v[26:27], v[22:23], v[26:27], 0x3efa01997c89e6b0
	s_delay_alu instid0(VALU_DEP_1) | instskip(NEXT) | instid1(VALU_DEP_1)
	v_fmaak_f64 v[26:27], v[22:23], v[26:27], 0x3f2a01a014761f6e
	v_fmaak_f64 v[26:27], v[22:23], v[26:27], 0x3f56c16c1852b7b0
	s_delay_alu instid0(VALU_DEP_1) | instskip(NEXT) | instid1(VALU_DEP_1)
	v_fmaak_f64 v[26:27], v[22:23], v[26:27], 0x3f81111111122322
	v_fmaak_f64 v[26:27], v[22:23], v[26:27], 0x3fa55555555502a1
	s_delay_alu instid0(VALU_DEP_1) | instskip(NEXT) | instid1(VALU_DEP_1)
	v_fmaak_f64 v[26:27], v[22:23], v[26:27], 0x3fc5555555555511
	v_fmaak_f64 v[26:27], v[22:23], v[26:27], 0x3fe000000000000b
	s_delay_alu instid0(VALU_DEP_1) | instskip(NEXT) | instid1(VALU_DEP_1)
	v_fma_f64 v[26:27], v[22:23], v[26:27], 1.0
	v_fma_f64 v[20:21], v[22:23], v[26:27], 1.0
	s_delay_alu instid0(VALU_DEP_1) | instskip(SKIP_1) | instid1(VALU_DEP_2)
	v_ldexp_f64 v[16:17], v[20:21], v28
	v_trunc_f64_e32 v[20:21], v[12:13]
	v_cndmask_b32_e64 v17, 0x7ff00000, v17, s3
	s_delay_alu instid0(VALU_DEP_3) | instskip(SKIP_1) | instid1(VALU_DEP_3)
	v_cndmask_b32_e32 v16, 0, v16, vcc_lo
	v_cmp_neq_f64_e32 vcc_lo, v[18:19], v[14:15]
	v_cndmask_b32_e64 v17, 0, v17, s4
	v_cmp_eq_f64_e64 s4, v[20:21], v[12:13]
	s_delay_alu instid0(VALU_DEP_2)
	v_fma_f64 v[10:11], v[16:17], v[10:11], v[16:17]
	v_cmp_class_f64_e64 s3, v[16:17], 0x204
	s_and_b32 vcc_lo, s4, vcc_lo
	v_cndmask_b32_e32 v13, 0x3ff00000, v9, vcc_lo
	v_cndmask_b32_e32 v15, 0, v9, vcc_lo
	v_dual_cndmask_b32 v11, v11, v17, s3 :: v_dual_cndmask_b32 v10, v10, v16, s3
	v_cmp_gt_f64_e64 s3, 0, v[8:9]
	s_delay_alu instid0(VALU_DEP_2) | instskip(NEXT) | instid1(VALU_DEP_3)
	v_bfi_b32 v11, 0x7fffffff, v11, v13
	v_cndmask_b32_e64 v12, 0, v10, s4
	s_delay_alu instid0(VALU_DEP_2) | instskip(SKIP_1) | instid1(VALU_DEP_2)
	v_cndmask_b32_e64 v13, 0x7ff80000, v11, s4
	v_cmp_eq_f64_e64 s4, 0, v[8:9]
	v_dual_cndmask_b32 v11, v11, v13, s3 :: v_dual_cndmask_b32 v10, v10, v12, s3
	s_delay_alu instid0(VALU_DEP_2)
	v_cndmask_b32_e64 v14, 0x7ff00000, 0, s4
	s_or_b32 vcc_lo, s4, s5
	s_delay_alu instid0(VALU_DEP_2) | instid1(SALU_CYCLE_1)
	v_cndmask_b32_e64 v10, v10, 0, vcc_lo
	s_delay_alu instid0(VALU_DEP_2) | instskip(NEXT) | instid1(VALU_DEP_1)
	v_bfi_b32 v12, 0x7fffffff, v14, v15
	v_cndmask_b32_e32 v11, v11, v12, vcc_lo
	v_cmp_o_f64_e32 vcc_lo, v[8:9], v[8:9]
	s_delay_alu instid0(VALU_DEP_2) | instskip(NEXT) | instid1(VALU_DEP_1)
	v_add_f64_e64 v[10:11], -v[10:11], 1.0
	v_cndmask_b32_e32 v11, 0x7ff80000, v11, vcc_lo
	s_delay_alu instid0(VALU_DEP_2) | instskip(NEXT) | instid1(VALU_DEP_1)
	v_cndmask_b32_e32 v10, 0, v10, vcc_lo
	v_frexp_mant_f64_e64 v[12:13], |v[10:11]|
	s_delay_alu instid0(VALU_DEP_1) | instskip(SKIP_1) | instid1(VALU_DEP_1)
	v_cmp_gt_f64_e32 vcc_lo, s[6:7], v[12:13]
	v_cndmask_b32_e64 v14, 0, 1, vcc_lo
	v_ldexp_f64 v[12:13], v[12:13], v14
	s_delay_alu instid0(VALU_DEP_1) | instskip(SKIP_1) | instid1(VALU_DEP_2)
	v_add_f64_e32 v[14:15], 1.0, v[12:13]
	v_add_f64_e32 v[20:21], -1.0, v[12:13]
	v_rcp_f64_e32 v[16:17], v[14:15]
	v_add_f64_e32 v[22:23], -1.0, v[14:15]
	s_delay_alu instid0(VALU_DEP_1) | instskip(NEXT) | instid1(TRANS32_DEP_1)
	v_add_f64_e64 v[12:13], v[12:13], -v[22:23]
	v_fma_f64 v[18:19], -v[14:15], v[16:17], 1.0
	s_delay_alu instid0(VALU_DEP_1) | instskip(NEXT) | instid1(VALU_DEP_1)
	v_fmac_f64_e32 v[16:17], v[18:19], v[16:17]
	v_fma_f64 v[18:19], -v[14:15], v[16:17], 1.0
	s_delay_alu instid0(VALU_DEP_1) | instskip(NEXT) | instid1(VALU_DEP_1)
	v_fmac_f64_e32 v[16:17], v[18:19], v[16:17]
	v_mul_f64_e32 v[18:19], v[20:21], v[16:17]
	s_delay_alu instid0(VALU_DEP_1) | instskip(NEXT) | instid1(VALU_DEP_1)
	v_mul_f64_e32 v[26:27], v[14:15], v[18:19]
	v_fma_f64 v[14:15], v[18:19], v[14:15], -v[26:27]
	s_delay_alu instid0(VALU_DEP_1) | instskip(NEXT) | instid1(VALU_DEP_1)
	v_fmac_f64_e32 v[14:15], v[18:19], v[12:13]
	v_add_f64_e32 v[12:13], v[26:27], v[14:15]
	s_delay_alu instid0(VALU_DEP_1) | instskip(SKIP_1) | instid1(VALU_DEP_2)
	v_add_f64_e64 v[22:23], v[20:21], -v[12:13]
	v_add_f64_e64 v[26:27], v[12:13], -v[26:27]
	;; [unrolled: 1-line block ×3, first 2 shown]
	s_delay_alu instid0(VALU_DEP_2) | instskip(NEXT) | instid1(VALU_DEP_2)
	v_add_f64_e64 v[14:15], v[26:27], -v[14:15]
	v_add_f64_e64 v[12:13], v[20:21], -v[12:13]
	s_delay_alu instid0(VALU_DEP_1) | instskip(NEXT) | instid1(VALU_DEP_1)
	v_add_f64_e32 v[12:13], v[14:15], v[12:13]
	v_add_f64_e32 v[12:13], v[22:23], v[12:13]
	s_delay_alu instid0(VALU_DEP_1) | instskip(NEXT) | instid1(VALU_DEP_1)
	v_mul_f64_e32 v[12:13], v[16:17], v[12:13]
	v_add_f64_e32 v[14:15], v[18:19], v[12:13]
	s_delay_alu instid0(VALU_DEP_1) | instskip(SKIP_1) | instid1(VALU_DEP_2)
	v_add_f64_e64 v[16:17], v[14:15], -v[18:19]
	v_mul_f64_e32 v[18:19], v[14:15], v[14:15]
	v_add_f64_e64 v[12:13], v[12:13], -v[16:17]
	s_delay_alu instid0(VALU_DEP_2) | instskip(NEXT) | instid1(VALU_DEP_2)
	v_fma_f64 v[16:17], v[14:15], v[14:15], -v[18:19]
	v_add_f64_e32 v[20:21], v[12:13], v[12:13]
	s_delay_alu instid0(VALU_DEP_1) | instskip(NEXT) | instid1(VALU_DEP_1)
	v_fmac_f64_e32 v[16:17], v[14:15], v[20:21]
	v_add_f64_e32 v[20:21], v[18:19], v[16:17]
	s_delay_alu instid0(VALU_DEP_1) | instskip(SKIP_2) | instid1(VALU_DEP_3)
	v_fmamk_f64 v[22:23], v[20:21], 0x3fbdee674222de17, v[6:7]
	v_add_f64_e64 v[18:19], v[20:21], -v[18:19]
	v_mul_f64_e32 v[30:31], v[14:15], v[20:21]
	v_fmaak_f64 v[22:23], v[20:21], v[22:23], 0x3fbe25e43abe935a
	s_delay_alu instid0(VALU_DEP_1) | instskip(NEXT) | instid1(VALU_DEP_1)
	v_fmaak_f64 v[22:23], v[20:21], v[22:23], 0x3fc110ef47e6c9c2
	v_fmaak_f64 v[22:23], v[20:21], v[22:23], 0x3fc3b13bcfa74449
	s_delay_alu instid0(VALU_DEP_1) | instskip(SKIP_1) | instid1(VALU_DEP_2)
	v_fmaak_f64 v[22:23], v[20:21], v[22:23], 0x3fc745d171bf3c30
	v_add_f64_e64 v[16:17], v[16:17], -v[18:19]
	v_fmaak_f64 v[22:23], v[20:21], v[22:23], 0x3fcc71c71c7792ce
	s_delay_alu instid0(VALU_DEP_1) | instskip(NEXT) | instid1(VALU_DEP_1)
	v_fmaak_f64 v[22:23], v[20:21], v[22:23], 0x3fd24924924920da
	v_fmaak_f64 v[22:23], v[20:21], v[22:23], 0x3fd999999999999c
	s_delay_alu instid0(VALU_DEP_1) | instskip(NEXT) | instid1(VALU_DEP_1)
	v_mul_f64_e32 v[26:27], v[20:21], v[22:23]
	v_fma_f64 v[18:19], v[20:21], v[22:23], -v[26:27]
	s_delay_alu instid0(VALU_DEP_1) | instskip(NEXT) | instid1(VALU_DEP_1)
	v_fmac_f64_e32 v[18:19], v[16:17], v[22:23]
	v_add_f64_e32 v[22:23], v[26:27], v[18:19]
	s_delay_alu instid0(VALU_DEP_1) | instskip(SKIP_1) | instid1(VALU_DEP_2)
	v_add_f64_e32 v[28:29], 0x3fe5555555555555, v[22:23]
	v_add_f64_e64 v[26:27], v[22:23], -v[26:27]
	v_add_f64_e32 v[32:33], 0xbfe5555555555555, v[28:29]
	s_delay_alu instid0(VALU_DEP_2) | instskip(SKIP_1) | instid1(VALU_DEP_3)
	v_add_f64_e64 v[18:19], v[18:19], -v[26:27]
	v_fma_f64 v[26:27], v[20:21], v[14:15], -v[30:31]
	v_add_f64_e64 v[22:23], v[22:23], -v[32:33]
	s_delay_alu instid0(VALU_DEP_3) | instskip(NEXT) | instid1(VALU_DEP_3)
	v_add_f64_e32 v[18:19], 0x3c8543b0d5df274d, v[18:19]
	v_fmac_f64_e32 v[26:27], v[20:21], v[12:13]
	v_ldexp_f64 v[12:13], v[12:13], 1
	s_delay_alu instid0(VALU_DEP_3) | instskip(NEXT) | instid1(VALU_DEP_3)
	v_add_f64_e32 v[18:19], v[18:19], v[22:23]
	v_fmac_f64_e32 v[26:27], v[16:17], v[14:15]
	v_ldexp_f64 v[14:15], v[14:15], 1
	s_delay_alu instid0(VALU_DEP_3) | instskip(NEXT) | instid1(VALU_DEP_3)
	v_add_f64_e32 v[16:17], v[28:29], v[18:19]
	v_add_f64_e32 v[20:21], v[30:31], v[26:27]
	s_delay_alu instid0(VALU_DEP_2) | instskip(NEXT) | instid1(VALU_DEP_2)
	v_add_f64_e64 v[22:23], v[28:29], -v[16:17]
	v_mul_f64_e32 v[28:29], v[20:21], v[16:17]
	v_add_f64_e64 v[30:31], v[20:21], -v[30:31]
	s_delay_alu instid0(VALU_DEP_3) | instskip(NEXT) | instid1(VALU_DEP_3)
	v_add_f64_e32 v[18:19], v[18:19], v[22:23]
	v_fma_f64 v[22:23], v[20:21], v[16:17], -v[28:29]
	s_delay_alu instid0(VALU_DEP_3) | instskip(NEXT) | instid1(VALU_DEP_2)
	v_add_f64_e64 v[26:27], v[26:27], -v[30:31]
	v_fmac_f64_e32 v[22:23], v[20:21], v[18:19]
	v_frexp_exp_i32_f64_e32 v18, v[10:11]
	s_delay_alu instid0(VALU_DEP_2) | instskip(NEXT) | instid1(VALU_DEP_2)
	v_fmac_f64_e32 v[22:23], v[26:27], v[16:17]
	v_subrev_co_ci_u32_e64 v18, null, 0, v18, vcc_lo
	v_cmp_eq_f64_e32 vcc_lo, 1.0, v[10:11]
	s_delay_alu instid0(VALU_DEP_2) | instskip(NEXT) | instid1(VALU_DEP_4)
	v_cvt_f64_i32_e32 v[18:19], v18
	v_add_f64_e32 v[16:17], v[28:29], v[22:23]
	s_delay_alu instid0(VALU_DEP_1) | instskip(SKIP_1) | instid1(VALU_DEP_4)
	v_add_f64_e32 v[20:21], v[14:15], v[16:17]
	v_add_f64_e64 v[26:27], v[16:17], -v[28:29]
	v_mul_f64_e32 v[28:29], 0x3fe62e42fefa39ef, v[18:19]
	s_delay_alu instid0(VALU_DEP_3) | instskip(NEXT) | instid1(VALU_DEP_3)
	v_add_f64_e64 v[14:15], v[20:21], -v[14:15]
	v_add_f64_e64 v[22:23], v[22:23], -v[26:27]
	s_delay_alu instid0(VALU_DEP_3) | instskip(NEXT) | instid1(VALU_DEP_3)
	v_fma_f64 v[26:27], v[18:19], s[14:15], -v[28:29]
	v_add_f64_e64 v[14:15], v[16:17], -v[14:15]
	s_delay_alu instid0(VALU_DEP_3) | instskip(NEXT) | instid1(VALU_DEP_3)
	v_add_f64_e32 v[12:13], v[12:13], v[22:23]
	v_fmac_f64_e32 v[26:27], 0x3c7abc9e3b39803f, v[18:19]
	s_delay_alu instid0(VALU_DEP_2) | instskip(NEXT) | instid1(VALU_DEP_2)
	v_add_f64_e32 v[12:13], v[12:13], v[14:15]
	v_add_f64_e32 v[14:15], v[28:29], v[26:27]
	s_delay_alu instid0(VALU_DEP_2) | instskip(NEXT) | instid1(VALU_DEP_2)
	v_add_f64_e32 v[16:17], v[20:21], v[12:13]
	v_add_f64_e64 v[28:29], v[14:15], -v[28:29]
	s_delay_alu instid0(VALU_DEP_2) | instskip(SKIP_1) | instid1(VALU_DEP_3)
	v_add_f64_e32 v[18:19], v[14:15], v[16:17]
	v_add_f64_e64 v[20:21], v[16:17], -v[20:21]
	v_add_f64_e64 v[26:27], v[26:27], -v[28:29]
	s_delay_alu instid0(VALU_DEP_3) | instskip(NEXT) | instid1(VALU_DEP_3)
	v_add_f64_e64 v[22:23], v[18:19], -v[14:15]
	v_add_f64_e64 v[12:13], v[12:13], -v[20:21]
	s_delay_alu instid0(VALU_DEP_2) | instskip(SKIP_1) | instid1(VALU_DEP_3)
	v_add_f64_e64 v[30:31], v[18:19], -v[22:23]
	v_add_f64_e64 v[16:17], v[16:17], -v[22:23]
	v_add_f64_e32 v[20:21], v[26:27], v[12:13]
	s_delay_alu instid0(VALU_DEP_3) | instskip(NEXT) | instid1(VALU_DEP_1)
	v_add_f64_e64 v[14:15], v[14:15], -v[30:31]
	v_add_f64_e32 v[14:15], v[16:17], v[14:15]
	s_delay_alu instid0(VALU_DEP_3) | instskip(NEXT) | instid1(VALU_DEP_2)
	v_add_f64_e64 v[16:17], v[20:21], -v[26:27]
	v_add_f64_e32 v[14:15], v[20:21], v[14:15]
	s_delay_alu instid0(VALU_DEP_2) | instskip(SKIP_1) | instid1(VALU_DEP_3)
	v_add_f64_e64 v[20:21], v[20:21], -v[16:17]
	v_add_f64_e64 v[12:13], v[12:13], -v[16:17]
	v_add_f64_e32 v[22:23], v[18:19], v[14:15]
	s_delay_alu instid0(VALU_DEP_3) | instskip(NEXT) | instid1(VALU_DEP_2)
	v_add_f64_e64 v[16:17], v[26:27], -v[20:21]
	v_add_f64_e64 v[18:19], v[22:23], -v[18:19]
	s_delay_alu instid0(VALU_DEP_2) | instskip(NEXT) | instid1(VALU_DEP_2)
	v_add_f64_e32 v[12:13], v[12:13], v[16:17]
	v_add_f64_e64 v[14:15], v[14:15], -v[18:19]
	s_delay_alu instid0(VALU_DEP_1) | instskip(SKIP_2) | instid1(VALU_DEP_3)
	v_add_f64_e32 v[14:15], v[12:13], v[14:15]
	v_cndmask_b32_e32 v13, 0x3fdc71c7, v42, vcc_lo
	v_cndmask_b32_e64 v12, 0x1c71c71d, 0, vcc_lo
	v_add_f64_e32 v[16:17], v[22:23], v[14:15]
	s_delay_alu instid0(VALU_DEP_1) | instskip(NEXT) | instid1(VALU_DEP_3)
	v_add_f64_e64 v[18:19], v[16:17], -v[22:23]
	v_mul_f64_e32 v[20:21], v[12:13], v[16:17]
	s_delay_alu instid0(VALU_DEP_2) | instskip(NEXT) | instid1(VALU_DEP_2)
	v_add_f64_e64 v[14:15], v[14:15], -v[18:19]
	v_fma_f64 v[16:17], v[12:13], v[16:17], -v[20:21]
	v_cmp_class_f64_e64 vcc_lo, v[20:21], 0x204
	s_delay_alu instid0(VALU_DEP_2) | instskip(NEXT) | instid1(VALU_DEP_1)
	v_fmac_f64_e32 v[16:17], v[12:13], v[14:15]
	v_add_f64_e32 v[14:15], v[20:21], v[16:17]
	s_delay_alu instid0(VALU_DEP_1) | instskip(SKIP_2) | instid1(VALU_DEP_3)
	v_dual_cndmask_b32 v19, v15, v21 :: v_dual_cndmask_b32 v18, v14, v20
	v_cmp_gt_f64_e32 vcc_lo, 0x10000000, v[8:9]
	v_add_f64_e64 v[14:15], v[14:15], -v[20:21]
	v_mul_f64_e32 v[22:23], 0x3ff71547652b82fe, v[18:19]
	v_cmp_nlt_f64_e64 s4, 0x40900000, v[18:19]
	v_cmp_neq_f64_e64 s3, 0x7ff00000, |v[18:19]|
	v_cmp_ngt_f64_e64 s5, 0xc090cc00, v[18:19]
	v_cndmask_b32_e64 v28, 0, 0x100, vcc_lo
	v_add_f64_e64 v[14:15], v[16:17], -v[14:15]
	v_mul_f64_e32 v[16:17], 0.5, v[12:13]
	v_rndne_f64_e32 v[22:23], v[22:23]
	s_delay_alu instid0(VALU_DEP_4)
	v_ldexp_f64 v[8:9], v[8:9], v28
	v_add_nc_u64_e32 v[28:29], s[12:13], v[40:41]
	v_cmp_class_f64_e64 s12, v[10:11], 0x204
	v_mov_b64_e32 v[40:41], 0
	global_load_b64 v[28:29], v[28:29], off
	v_dual_cndmask_b32 v15, 0, v15, s3 :: v_dual_cndmask_b32 v14, 0, v14, s3
	s_and_b32 s3, s5, s4
	v_fmamk_f64 v[26:27], v[22:23], 0xbfe62e42fefa39ef, v[18:19]
	v_rsq_f64_e32 v[32:33], v[8:9]
	v_cvt_i32_f64_e32 v38, v[22:23]
	s_delay_alu instid0(VALU_DEP_2) | instskip(NEXT) | instid1(TRANS32_DEP_1)
	v_fmac_f64_e32 v[26:27], 0xbc7abc9e3b39803f, v[22:23]
	v_mul_f64_e32 v[34:35], v[8:9], v[32:33]
	s_delay_alu instid0(VALU_DEP_2) | instskip(SKIP_1) | instid1(VALU_DEP_2)
	v_fmamk_f64 v[30:31], v[26:27], 0x3e5ade156a5dcb37, v[4:5]
	v_mul_f64_e32 v[32:33], 0.5, v[32:33]
	v_fmaak_f64 v[30:31], v[26:27], v[30:31], 0x3ec71dee623fde64
	s_delay_alu instid0(VALU_DEP_1) | instskip(NEXT) | instid1(VALU_DEP_1)
	v_fmaak_f64 v[30:31], v[26:27], v[30:31], 0x3efa01997c89e6b0
	v_fmaak_f64 v[30:31], v[26:27], v[30:31], 0x3f2a01a014761f6e
	s_delay_alu instid0(VALU_DEP_1) | instskip(SKIP_1) | instid1(VALU_DEP_2)
	v_fmaak_f64 v[30:31], v[26:27], v[30:31], 0x3f56c16c1852b7b0
	v_fma_f64 v[36:37], -v[32:33], v[34:35], 0.5
	v_fmaak_f64 v[30:31], v[26:27], v[30:31], 0x3f81111111122322
	s_delay_alu instid0(VALU_DEP_1) | instskip(NEXT) | instid1(VALU_DEP_1)
	v_fmaak_f64 v[30:31], v[26:27], v[30:31], 0x3fa55555555502a1
	v_fmaak_f64 v[30:31], v[26:27], v[30:31], 0x3fc5555555555511
	s_delay_alu instid0(VALU_DEP_1) | instskip(NEXT) | instid1(VALU_DEP_1)
	v_fmaak_f64 v[30:31], v[26:27], v[30:31], 0x3fe000000000000b
	v_fma_f64 v[30:31], v[26:27], v[30:31], 1.0
	v_fmac_f64_e32 v[34:35], v[34:35], v[36:37]
	v_fmac_f64_e32 v[32:33], v[32:33], v[36:37]
	v_mov_b64_e32 v[36:37], 0x3fc110ef47e6c9c2
	s_delay_alu instid0(VALU_DEP_4) | instskip(SKIP_1) | instid1(VALU_DEP_2)
	v_fma_f64 v[22:23], v[26:27], v[30:31], 1.0
	v_mov_b64_e32 v[30:31], 0x3fcc71c71c7792ce
	v_ldexp_f64 v[20:21], v[22:23], v38
	v_fma_f64 v[22:23], -v[34:35], v[34:35], v[8:9]
	v_mov_b64_e32 v[38:39], 0x3fbe25e43abe935a
	s_delay_alu instid0(VALU_DEP_3) | instskip(NEXT) | instid1(VALU_DEP_3)
	v_cndmask_b32_e64 v21, 0x7ff00000, v21, s4
	v_fmac_f64_e32 v[34:35], v[22:23], v[32:33]
	v_cndmask_b32_e64 v18, 0, v20, s3
	v_trunc_f64_e32 v[22:23], v[12:13]
	s_delay_alu instid0(VALU_DEP_4) | instskip(SKIP_1) | instid1(VALU_DEP_2)
	v_cndmask_b32_e64 v19, 0, v21, s5
	v_trunc_f64_e32 v[20:21], v[16:17]
	v_fma_f64 v[14:15], v[18:19], v[14:15], v[18:19]
	v_cmp_class_f64_e64 s4, v[18:19], 0x204
	v_fma_f64 v[26:27], -v[34:35], v[34:35], v[8:9]
	v_cmp_eq_f64_e64 s5, v[22:23], v[12:13]
	v_mov_b64_e32 v[22:23], 0x3ec71dee623fde64
	v_cmp_neq_f64_e64 s3, v[20:21], v[16:17]
	v_mov_b64_e32 v[20:21], 0x3efa01997c89e6b0
	v_dual_cndmask_b32 v12, v15, v19, s4 :: v_dual_cndmask_b32 v14, v14, v18, s4
	v_cmp_gt_f64_e64 s4, 0, v[10:11]
	v_fmac_f64_e32 v[34:35], v[26:27], v[32:33]
	v_mov_b64_e32 v[32:33], 0x3fc745d171bf3c30
	s_delay_alu instid0(VALU_DEP_4) | instskip(SKIP_2) | instid1(SALU_CYCLE_1)
	v_cndmask_b32_e64 v15, 0, v14, s5
	v_mov_b64_e32 v[26:27], 0x3fd999999999999c
	s_and_b32 s3, s5, s3
	v_cndmask_b32_e64 v13, 0x3ff00000, v11, s3
	v_cndmask_b32_e64 v19, 0, v11, s3
	s_delay_alu instid0(VALU_DEP_2) | instskip(SKIP_3) | instid1(VALU_DEP_4)
	v_bfi_b32 v16, 0x7fffffff, v12, v13
	v_cndmask_b32_e64 v12, 0, 0xffffff80, vcc_lo
	v_cmp_class_f64_e64 vcc_lo, v[8:9], 0x260
	v_cndmask_b32_e64 v14, v14, v15, s4
	v_cndmask_b32_e64 v17, 0x7ff80000, v16, s5
	v_cmp_eq_f64_e64 s5, 0, v[10:11]
	s_delay_alu instid0(VALU_DEP_2) | instskip(SKIP_2) | instid1(VALU_DEP_4)
	v_cndmask_b32_e64 v16, v16, v17, s4
	v_ldexp_f64 v[12:13], v[34:35], v12
	v_mov_b64_e32 v[34:35], 0x3fc3b13bcfa74449
	v_cndmask_b32_e64 v18, 0x7ff00000, 0, s5
	s_or_b32 s3, s5, s12
	s_load_b64 s[4:5], s[0:1], 0x10
	v_cndmask_b32_e64 v14, v14, 0, s3
	s_delay_alu instid0(VALU_DEP_2) | instskip(SKIP_1) | instid1(VALU_DEP_2)
	v_bfi_b32 v15, 0x7fffffff, v18, v19
	v_mov_b64_e32 v[18:19], 0x3f2a01a014761f6e
	v_cndmask_b32_e64 v15, v16, v15, s3
	v_mov_b64_e32 v[16:17], 0x3f56c16c1852b7b0
	v_dual_cndmask_b32 v9, v13, v9 :: v_dual_cndmask_b32 v8, v12, v8
	s_delay_alu instid0(VALU_DEP_3)
	v_add_f64_e64 v[12:13], -v[14:15], 1.0
	v_cmp_o_f64_e32 vcc_lo, v[10:11], v[10:11]
	v_mov_b64_e32 v[14:15], 0x3f81111111122322
	s_wait_loadcnt 0x0
	v_mul_f64_e32 v[8:9], v[28:29], v[8:9]
	v_mov_b64_e32 v[28:29], 0x3fd24924924920da
	v_cndmask_b32_e32 v11, 0x7ff80000, v13, vcc_lo
	v_cndmask_b32_e32 v10, 0, v12, vcc_lo
	v_mov_b64_e32 v[12:13], 0x3fa55555555502a1
	s_delay_alu instid0(VALU_DEP_2) | instskip(NEXT) | instid1(VALU_DEP_1)
	v_mul_f64_e32 v[8:9], v[8:9], v[10:11]
	v_mul_f64_e32 v[44:45], v[10:11], v[8:9]
	v_mov_b64_e32 v[8:9], 0x3fc5555555555511
	v_mov_b64_e32 v[10:11], 0x3fe000000000000b
	global_store_b64 v[46:47], v[24:25], off
	global_store_b64 v[48:49], v[44:45], off
	s_wait_xcnt 0x0
	s_and_saveexec_b32 s3, s2
	s_cbranch_execz .LBB0_5
; %bb.4:
	s_mov_b64 s[0:1], 0x3f947ae147ae147b
	s_delay_alu instid0(SALU_CYCLE_1) | instskip(NEXT) | instid1(VALU_DEP_1)
	v_mul_f64_e64 v[2:3], |v[2:3]|, s[0:1]
	v_frexp_mant_f64_e32 v[40:41], v[2:3]
	v_frexp_exp_i32_f64_e32 v43, v[2:3]
	v_cmp_eq_f64_e32 vcc_lo, 1.0, v[2:3]
	s_delay_alu instid0(VALU_DEP_3) | instskip(SKIP_2) | instid1(VALU_DEP_3)
	v_cmp_gt_f64_e64 s0, s[6:7], v[40:41]
	v_cndmask_b32_e32 v25, 0x3fe99999, v42, vcc_lo
	v_cndmask_b32_e64 v24, 0x9999999a, 0, vcc_lo
	v_cndmask_b32_e64 v44, 0, 1, s0
	v_subrev_co_ci_u32_e64 v43, null, 0, v43, s0
	s_delay_alu instid0(VALU_DEP_2) | instskip(NEXT) | instid1(VALU_DEP_1)
	v_ldexp_f64 v[40:41], v[40:41], v44
	v_add_f64_e32 v[46:47], 1.0, v[40:41]
	v_add_f64_e32 v[44:45], -1.0, v[40:41]
	s_delay_alu instid0(VALU_DEP_2) | instskip(NEXT) | instid1(VALU_DEP_1)
	v_add_f64_e32 v[48:49], -1.0, v[46:47]
	v_add_f64_e64 v[40:41], v[40:41], -v[48:49]
	v_rcp_f64_e32 v[48:49], v[46:47]
	v_nop
	s_delay_alu instid0(TRANS32_DEP_1) | instskip(NEXT) | instid1(VALU_DEP_1)
	v_fma_f64 v[50:51], -v[46:47], v[48:49], 1.0
	v_fmac_f64_e32 v[48:49], v[50:51], v[48:49]
	s_delay_alu instid0(VALU_DEP_1) | instskip(NEXT) | instid1(VALU_DEP_1)
	v_fma_f64 v[50:51], -v[46:47], v[48:49], 1.0
	v_fmac_f64_e32 v[48:49], v[50:51], v[48:49]
	s_delay_alu instid0(VALU_DEP_1) | instskip(NEXT) | instid1(VALU_DEP_1)
	v_mul_f64_e32 v[50:51], v[44:45], v[48:49]
	v_mul_f64_e32 v[52:53], v[46:47], v[50:51]
	s_delay_alu instid0(VALU_DEP_1) | instskip(NEXT) | instid1(VALU_DEP_1)
	v_fma_f64 v[46:47], v[50:51], v[46:47], -v[52:53]
	v_fmac_f64_e32 v[46:47], v[50:51], v[40:41]
	s_delay_alu instid0(VALU_DEP_1) | instskip(NEXT) | instid1(VALU_DEP_1)
	v_add_f64_e32 v[40:41], v[52:53], v[46:47]
	v_add_f64_e64 v[54:55], v[44:45], -v[40:41]
	v_add_f64_e64 v[52:53], v[40:41], -v[52:53]
	s_delay_alu instid0(VALU_DEP_2) | instskip(NEXT) | instid1(VALU_DEP_1)
	v_add_f64_e64 v[44:45], v[44:45], -v[54:55]
	v_add_f64_e64 v[40:41], v[44:45], -v[40:41]
	s_delay_alu instid0(VALU_DEP_3) | instskip(SKIP_1) | instid1(VALU_DEP_2)
	v_add_f64_e64 v[44:45], v[52:53], -v[46:47]
	v_cvt_f64_i32_e32 v[52:53], v43
	v_add_f64_e32 v[40:41], v[44:45], v[40:41]
	s_delay_alu instid0(VALU_DEP_1) | instskip(NEXT) | instid1(VALU_DEP_3)
	v_add_f64_e32 v[40:41], v[54:55], v[40:41]
	v_mul_f64_e32 v[54:55], 0x3fe62e42fefa39ef, v[52:53]
	s_delay_alu instid0(VALU_DEP_2) | instskip(NEXT) | instid1(VALU_DEP_2)
	v_mul_f64_e32 v[40:41], v[48:49], v[40:41]
	v_fma_f64 v[56:57], v[52:53], s[14:15], -v[54:55]
	s_delay_alu instid0(VALU_DEP_2) | instskip(NEXT) | instid1(VALU_DEP_2)
	v_add_f64_e32 v[44:45], v[50:51], v[40:41]
	v_fmac_f64_e32 v[56:57], 0x3c7abc9e3b39803f, v[52:53]
	s_delay_alu instid0(VALU_DEP_2) | instskip(NEXT) | instid1(VALU_DEP_2)
	v_add_f64_e64 v[46:47], v[44:45], -v[50:51]
	v_add_f64_e32 v[52:53], v[54:55], v[56:57]
	s_delay_alu instid0(VALU_DEP_2) | instskip(SKIP_1) | instid1(VALU_DEP_3)
	v_add_f64_e64 v[40:41], v[40:41], -v[46:47]
	v_mul_f64_e32 v[46:47], v[44:45], v[44:45]
	v_add_f64_e64 v[54:55], v[52:53], -v[54:55]
	s_delay_alu instid0(VALU_DEP_3) | instskip(NEXT) | instid1(VALU_DEP_3)
	v_add_f64_e32 v[50:51], v[40:41], v[40:41]
	v_fma_f64 v[48:49], v[44:45], v[44:45], -v[46:47]
	v_ldexp_f64 v[58:59], v[40:41], 1
	s_delay_alu instid0(VALU_DEP_4) | instskip(SKIP_1) | instid1(VALU_DEP_4)
	v_add_f64_e64 v[54:55], v[56:57], -v[54:55]
	v_ldexp_f64 v[56:57], v[44:45], 1
	v_fmac_f64_e32 v[48:49], v[44:45], v[50:51]
	s_delay_alu instid0(VALU_DEP_1) | instskip(NEXT) | instid1(VALU_DEP_1)
	v_add_f64_e32 v[50:51], v[46:47], v[48:49]
	v_mul_f64_e32 v[60:61], v[44:45], v[50:51]
	v_add_f64_e64 v[46:47], v[50:51], -v[46:47]
	s_delay_alu instid0(VALU_DEP_2) | instskip(NEXT) | instid1(VALU_DEP_2)
	v_fma_f64 v[62:63], v[50:51], v[44:45], -v[60:61]
	v_add_f64_e64 v[46:47], v[48:49], -v[46:47]
	v_fmamk_f64 v[48:49], v[50:51], 0x3fbdee674222de17, v[6:7]
	s_delay_alu instid0(VALU_DEP_1) | instskip(NEXT) | instid1(VALU_DEP_1)
	v_fmaak_f64 v[48:49], v[50:51], v[48:49], 0x3fbe25e43abe935a
	v_fmaak_f64 v[48:49], v[50:51], v[48:49], 0x3fc110ef47e6c9c2
	s_delay_alu instid0(VALU_DEP_1) | instskip(NEXT) | instid1(VALU_DEP_1)
	v_fmaak_f64 v[48:49], v[50:51], v[48:49], 0x3fc3b13bcfa74449
	v_fmaak_f64 v[48:49], v[50:51], v[48:49], 0x3fc745d171bf3c30
	v_fmac_f64_e32 v[62:63], v[50:51], v[40:41]
	s_delay_alu instid0(VALU_DEP_2) | instskip(NEXT) | instid1(VALU_DEP_1)
	v_fmaak_f64 v[48:49], v[50:51], v[48:49], 0x3fcc71c71c7792ce
	v_fmaak_f64 v[48:49], v[50:51], v[48:49], 0x3fd24924924920da
	s_delay_alu instid0(VALU_DEP_1) | instskip(NEXT) | instid1(VALU_DEP_4)
	v_fmaak_f64 v[48:49], v[50:51], v[48:49], 0x3fd999999999999c
	v_fmac_f64_e32 v[62:63], v[46:47], v[44:45]
	s_delay_alu instid0(VALU_DEP_1) | instskip(NEXT) | instid1(VALU_DEP_1)
	v_add_f64_e32 v[40:41], v[60:61], v[62:63]
	v_add_f64_e64 v[44:45], v[40:41], -v[60:61]
	s_delay_alu instid0(VALU_DEP_4) | instskip(NEXT) | instid1(VALU_DEP_2)
	v_mul_f64_e32 v[60:61], v[50:51], v[48:49]
	v_add_f64_e64 v[44:45], v[62:63], -v[44:45]
	s_delay_alu instid0(VALU_DEP_2) | instskip(NEXT) | instid1(VALU_DEP_1)
	v_fma_f64 v[50:51], v[50:51], v[48:49], -v[60:61]
	v_fmac_f64_e32 v[50:51], v[46:47], v[48:49]
	s_delay_alu instid0(VALU_DEP_1) | instskip(NEXT) | instid1(VALU_DEP_1)
	v_add_f64_e32 v[46:47], v[60:61], v[50:51]
	v_add_f64_e64 v[48:49], v[46:47], -v[60:61]
	s_delay_alu instid0(VALU_DEP_1) | instskip(SKIP_1) | instid1(VALU_DEP_2)
	v_add_f64_e64 v[48:49], v[50:51], -v[48:49]
	v_add_f64_e32 v[50:51], 0x3fe5555555555555, v[46:47]
	v_add_f64_e32 v[48:49], 0x3c8543b0d5df274d, v[48:49]
	s_delay_alu instid0(VALU_DEP_2) | instskip(NEXT) | instid1(VALU_DEP_1)
	v_add_f64_e32 v[60:61], 0xbfe5555555555555, v[50:51]
	v_add_f64_e64 v[46:47], v[46:47], -v[60:61]
	s_delay_alu instid0(VALU_DEP_1) | instskip(NEXT) | instid1(VALU_DEP_1)
	v_add_f64_e32 v[46:47], v[48:49], v[46:47]
	v_add_f64_e32 v[48:49], v[50:51], v[46:47]
	s_delay_alu instid0(VALU_DEP_1) | instskip(NEXT) | instid1(VALU_DEP_1)
	v_add_f64_e64 v[50:51], v[50:51], -v[48:49]
	v_add_f64_e32 v[46:47], v[46:47], v[50:51]
	v_mul_f64_e32 v[50:51], v[40:41], v[48:49]
	s_delay_alu instid0(VALU_DEP_1) | instskip(NEXT) | instid1(VALU_DEP_1)
	v_fma_f64 v[60:61], v[40:41], v[48:49], -v[50:51]
	v_fmac_f64_e32 v[60:61], v[40:41], v[46:47]
	s_delay_alu instid0(VALU_DEP_1) | instskip(NEXT) | instid1(VALU_DEP_1)
	v_fmac_f64_e32 v[60:61], v[44:45], v[48:49]
	v_add_f64_e32 v[40:41], v[50:51], v[60:61]
	s_delay_alu instid0(VALU_DEP_1) | instskip(SKIP_1) | instid1(VALU_DEP_2)
	v_add_f64_e64 v[44:45], v[40:41], -v[50:51]
	v_add_f64_e32 v[46:47], v[56:57], v[40:41]
	v_add_f64_e64 v[44:45], v[60:61], -v[44:45]
	s_delay_alu instid0(VALU_DEP_2) | instskip(NEXT) | instid1(VALU_DEP_2)
	v_add_f64_e64 v[48:49], v[46:47], -v[56:57]
	v_add_f64_e32 v[44:45], v[58:59], v[44:45]
	s_delay_alu instid0(VALU_DEP_2) | instskip(NEXT) | instid1(VALU_DEP_1)
	v_add_f64_e64 v[40:41], v[40:41], -v[48:49]
	v_add_f64_e32 v[40:41], v[44:45], v[40:41]
	s_delay_alu instid0(VALU_DEP_1) | instskip(NEXT) | instid1(VALU_DEP_1)
	v_add_f64_e32 v[44:45], v[46:47], v[40:41]
	v_add_f64_e64 v[46:47], v[44:45], -v[46:47]
	s_delay_alu instid0(VALU_DEP_1) | instskip(SKIP_1) | instid1(VALU_DEP_1)
	v_add_f64_e64 v[40:41], v[40:41], -v[46:47]
	v_add_f64_e32 v[46:47], v[52:53], v[44:45]
	v_add_f64_e64 v[48:49], v[46:47], -v[52:53]
	s_delay_alu instid0(VALU_DEP_1) | instskip(SKIP_2) | instid1(VALU_DEP_3)
	v_add_f64_e64 v[50:51], v[46:47], -v[48:49]
	v_add_f64_e64 v[44:45], v[44:45], -v[48:49]
	v_add_f64_e32 v[48:49], v[54:55], v[40:41]
	v_add_f64_e64 v[50:51], v[52:53], -v[50:51]
	s_delay_alu instid0(VALU_DEP_1) | instskip(NEXT) | instid1(VALU_DEP_3)
	v_add_f64_e32 v[44:45], v[44:45], v[50:51]
	v_add_f64_e64 v[50:51], v[48:49], -v[54:55]
	s_delay_alu instid0(VALU_DEP_2) | instskip(NEXT) | instid1(VALU_DEP_2)
	v_add_f64_e32 v[44:45], v[48:49], v[44:45]
	v_add_f64_e64 v[52:53], v[48:49], -v[50:51]
	v_add_f64_e64 v[40:41], v[40:41], -v[50:51]
	s_delay_alu instid0(VALU_DEP_3) | instskip(NEXT) | instid1(VALU_DEP_3)
	v_add_f64_e32 v[48:49], v[46:47], v[44:45]
	v_add_f64_e64 v[52:53], v[54:55], -v[52:53]
	s_delay_alu instid0(VALU_DEP_2) | instskip(NEXT) | instid1(VALU_DEP_2)
	v_add_f64_e64 v[46:47], v[48:49], -v[46:47]
	v_add_f64_e32 v[40:41], v[40:41], v[52:53]
	s_delay_alu instid0(VALU_DEP_2) | instskip(NEXT) | instid1(VALU_DEP_1)
	v_add_f64_e64 v[44:45], v[44:45], -v[46:47]
	v_add_f64_e32 v[40:41], v[40:41], v[44:45]
	s_delay_alu instid0(VALU_DEP_1) | instskip(NEXT) | instid1(VALU_DEP_1)
	v_add_f64_e32 v[44:45], v[48:49], v[40:41]
	v_add_f64_e64 v[46:47], v[44:45], -v[48:49]
	s_delay_alu instid0(VALU_DEP_1) | instskip(SKIP_1) | instid1(VALU_DEP_1)
	v_add_f64_e64 v[40:41], v[40:41], -v[46:47]
	v_mul_f64_e32 v[46:47], v[24:25], v[44:45]
	v_fma_f64 v[48:49], v[24:25], v[44:45], -v[46:47]
	v_cmp_class_f64_e64 s0, v[46:47], 0x204
	s_delay_alu instid0(VALU_DEP_2) | instskip(NEXT) | instid1(VALU_DEP_1)
	v_fmac_f64_e32 v[48:49], v[24:25], v[40:41]
	v_add_f64_e32 v[24:25], v[46:47], v[48:49]
	s_delay_alu instid0(VALU_DEP_1) | instskip(NEXT) | instid1(VALU_DEP_4)
	v_add_f64_e64 v[50:51], v[24:25], -v[46:47]
	v_dual_cndmask_b32 v25, v25, v47, s0 :: v_dual_cndmask_b32 v24, v24, v46, s0
	s_delay_alu instid0(VALU_DEP_1) | instskip(SKIP_1) | instid1(VALU_DEP_4)
	v_cmp_neq_f64_e64 s0, 0x7ff00000, |v[24:25]|
	v_cmp_ngt_f64_e64 s1, 0xc090cc00, v[24:25]
	v_add_f64_e64 v[48:49], v[48:49], -v[50:51]
	s_delay_alu instid0(VALU_DEP_1) | instskip(SKIP_2) | instid1(VALU_DEP_2)
	v_dual_cndmask_b32 v47, 0, v49, s0 :: v_dual_cndmask_b32 v46, 0, v48, s0
	v_mul_f64_e32 v[48:49], 0x3ff71547652b82fe, v[24:25]
	v_cmp_nlt_f64_e64 s0, 0x40900000, v[24:25]
	v_rndne_f64_e32 v[48:49], v[48:49]
	s_delay_alu instid0(VALU_DEP_1) | instskip(SKIP_1) | instid1(VALU_DEP_2)
	v_fmamk_f64 v[50:51], v[48:49], 0xbfe62e42fefa39ef, v[24:25]
	v_cvt_i32_f64_e32 v43, v[48:49]
	v_fmac_f64_e32 v[50:51], 0xbc7abc9e3b39803f, v[48:49]
	s_delay_alu instid0(VALU_DEP_1) | instskip(NEXT) | instid1(VALU_DEP_1)
	v_fmamk_f64 v[52:53], v[50:51], 0x3e5ade156a5dcb37, v[4:5]
	v_fmaak_f64 v[52:53], v[50:51], v[52:53], 0x3ec71dee623fde64
	s_delay_alu instid0(VALU_DEP_1) | instskip(NEXT) | instid1(VALU_DEP_1)
	v_fmaak_f64 v[52:53], v[50:51], v[52:53], 0x3efa01997c89e6b0
	v_fmaak_f64 v[52:53], v[50:51], v[52:53], 0x3f2a01a014761f6e
	s_delay_alu instid0(VALU_DEP_1) | instskip(NEXT) | instid1(VALU_DEP_1)
	v_fmaak_f64 v[52:53], v[50:51], v[52:53], 0x3f56c16c1852b7b0
	;; [unrolled: 3-line block ×4, first 2 shown]
	v_fma_f64 v[52:53], v[50:51], v[52:53], 1.0
	s_delay_alu instid0(VALU_DEP_1) | instskip(NEXT) | instid1(VALU_DEP_1)
	v_fma_f64 v[50:51], v[50:51], v[52:53], 1.0
	v_ldexp_f64 v[48:49], v[50:51], v43
	s_delay_alu instid0(VALU_DEP_1)
	v_cndmask_b32_e64 v43, 0x7ff00000, v49, s0
	s_and_b32 s0, s1, s0
	s_delay_alu instid0(VALU_DEP_1) | instid1(SALU_CYCLE_1)
	v_dual_cndmask_b32 v24, 0, v48, s0 :: v_dual_cndmask_b32 v25, 0, v43, s1
	v_cmp_eq_f64_e64 s1, 0, v[2:3]
	s_delay_alu instid0(VALU_DEP_2) | instskip(SKIP_1) | instid1(VALU_DEP_3)
	v_fma_f64 v[46:47], v[24:25], v[46:47], v[24:25]
	v_cmp_class_f64_e64 s0, v[24:25], 0x204
	v_cndmask_b32_e64 v43, 0x7ff00000, 0, s1
	s_delay_alu instid0(VALU_DEP_2) | instskip(SKIP_1) | instid1(VALU_DEP_2)
	v_dual_cndmask_b32 v25, v47, v25, s0 :: v_dual_cndmask_b32 v24, v46, v24, s0
	v_cmp_eq_f64_e64 s0, 0x7ff00000, v[2:3]
	v_and_b32_e32 v25, 0x7fffffff, v25
	s_or_b32 s0, s1, s0
	s_delay_alu instid0(VALU_DEP_1) | instid1(SALU_CYCLE_1)
	v_cndmask_b32_e64 v3, v25, v43, s0
	v_cndmask_b32_e64 v2, v24, 0, s0
	v_cndmask_b32_e32 v25, 0x3ffccccc, v42, vcc_lo
	v_cndmask_b32_e64 v24, 0xcccccccd, 0, vcc_lo
	s_delay_alu instid0(VALU_DEP_3) | instskip(NEXT) | instid1(VALU_DEP_2)
	v_mul_f64_e32 v[2:3], 0xbff9999999999999, v[2:3]
	v_mul_f64_e32 v[46:47], v[24:25], v[44:45]
	s_delay_alu instid0(VALU_DEP_2) | instskip(NEXT) | instid1(VALU_DEP_2)
	v_mul_f64_e32 v[2:3], 0xbfd6666666666666, v[2:3]
	v_fma_f64 v[44:45], v[24:25], v[44:45], -v[46:47]
	v_cmp_class_f64_e64 vcc_lo, v[46:47], 0x204
	s_delay_alu instid0(VALU_DEP_2) | instskip(NEXT) | instid1(VALU_DEP_1)
	v_fmac_f64_e32 v[44:45], v[24:25], v[40:41]
	v_add_f64_e32 v[24:25], v[46:47], v[44:45]
	s_delay_alu instid0(VALU_DEP_1) | instskip(SKIP_1) | instid1(VALU_DEP_1)
	v_add_f64_e64 v[40:41], v[24:25], -v[46:47]
	v_dual_cndmask_b32 v25, v25, v47 :: v_dual_cndmask_b32 v24, v24, v46
	v_cmp_neq_f64_e64 vcc_lo, 0x7ff00000, |v[24:25]|
	v_cmp_ngt_f64_e64 s1, 0xc090cc00, v[24:25]
	s_delay_alu instid0(VALU_DEP_4) | instskip(SKIP_1) | instid1(VALU_DEP_2)
	v_add_f64_e64 v[40:41], v[44:45], -v[40:41]
	v_mul_f64_e32 v[44:45], 0x3ff71547652b82fe, v[24:25]
	v_cndmask_b32_e32 v41, 0, v41, vcc_lo
	s_delay_alu instid0(VALU_DEP_2) | instskip(NEXT) | instid1(VALU_DEP_4)
	v_rndne_f64_e32 v[44:45], v[44:45]
	v_cndmask_b32_e32 v40, 0, v40, vcc_lo
	v_cmp_nlt_f64_e32 vcc_lo, 0x40900000, v[24:25]
	s_delay_alu instid0(VALU_DEP_3) | instskip(NEXT) | instid1(VALU_DEP_1)
	v_fmamk_f64 v[46:47], v[44:45], 0xbfe62e42fefa39ef, v[24:25]
	v_fmac_f64_e32 v[46:47], 0xbc7abc9e3b39803f, v[44:45]
	v_cvt_i32_f64_e32 v44, v[44:45]
	s_delay_alu instid0(VALU_DEP_2) | instskip(NEXT) | instid1(VALU_DEP_1)
	v_fmamk_f64 v[48:49], v[46:47], 0x3e5ade156a5dcb37, v[4:5]
	v_fmaak_f64 v[48:49], v[46:47], v[48:49], 0x3ec71dee623fde64
	s_delay_alu instid0(VALU_DEP_1) | instskip(NEXT) | instid1(VALU_DEP_1)
	v_fmaak_f64 v[48:49], v[46:47], v[48:49], 0x3efa01997c89e6b0
	v_fmaak_f64 v[48:49], v[46:47], v[48:49], 0x3f2a01a014761f6e
	s_delay_alu instid0(VALU_DEP_1) | instskip(NEXT) | instid1(VALU_DEP_1)
	v_fmaak_f64 v[48:49], v[46:47], v[48:49], 0x3f56c16c1852b7b0
	v_fmaak_f64 v[48:49], v[46:47], v[48:49], 0x3f81111111122322
	s_delay_alu instid0(VALU_DEP_1) | instskip(NEXT) | instid1(VALU_DEP_1)
	v_fmaak_f64 v[48:49], v[46:47], v[48:49], 0x3fa55555555502a1
	v_fmaak_f64 v[48:49], v[46:47], v[48:49], 0x3fc5555555555511
	s_delay_alu instid0(VALU_DEP_1) | instskip(NEXT) | instid1(VALU_DEP_1)
	v_fmaak_f64 v[48:49], v[46:47], v[48:49], 0x3fe000000000000b
	v_fma_f64 v[48:49], v[46:47], v[48:49], 1.0
	s_delay_alu instid0(VALU_DEP_1) | instskip(NEXT) | instid1(VALU_DEP_1)
	v_fma_f64 v[46:47], v[46:47], v[48:49], 1.0
	v_ldexp_f64 v[44:45], v[46:47], v44
	s_delay_alu instid0(VALU_DEP_1)
	v_cndmask_b32_e32 v45, 0x7ff00000, v45, vcc_lo
	s_and_b32 vcc_lo, s1, vcc_lo
	s_delay_alu instid0(VALU_DEP_1) | instid1(SALU_CYCLE_1)
	v_dual_cndmask_b32 v24, 0, v44, vcc_lo :: v_dual_cndmask_b32 v25, 0, v45, s1
	s_delay_alu instid0(VALU_DEP_1) | instskip(SKIP_1) | instid1(VALU_DEP_2)
	v_fma_f64 v[40:41], v[24:25], v[40:41], v[24:25]
	v_cmp_class_f64_e64 vcc_lo, v[24:25], 0x204
	v_dual_cndmask_b32 v25, v41, v25 :: v_dual_cndmask_b32 v24, v40, v24
	s_delay_alu instid0(VALU_DEP_1) | instskip(NEXT) | instid1(VALU_DEP_2)
	v_and_b32_e32 v25, 0x7fffffff, v25
	v_cndmask_b32_e64 v24, v24, 0, s0
	s_delay_alu instid0(VALU_DEP_2) | instskip(NEXT) | instid1(VALU_DEP_1)
	v_cndmask_b32_e64 v25, v25, v43, s0
	v_add_f64_e32 v[24:25], 1.0, v[24:25]
	s_delay_alu instid0(VALU_DEP_1)
	v_cmp_eq_f64_e32 vcc_lo, 1.0, v[24:25]
	v_frexp_exp_i32_f64_e32 v44, v[24:25]
	v_cmp_class_f64_e64 s1, v[24:25], 0x204
	v_cndmask_b32_e32 v41, 0xbff71c71, v42, vcc_lo
	v_frexp_mant_f64_e64 v[42:43], |v[24:25]|
	v_cndmask_b32_e64 v40, 0xc71c71c7, 0, vcc_lo
	s_delay_alu instid0(VALU_DEP_1) | instskip(NEXT) | instid1(VALU_DEP_3)
	v_cmp_gt_f64_e64 s2, 0, v[40:41]
	v_cmp_gt_f64_e32 vcc_lo, s[6:7], v[42:43]
	v_cndmask_b32_e64 v45, 0, 1, vcc_lo
	v_subrev_co_ci_u32_e64 v56, null, 0, v44, vcc_lo
	s_delay_alu instid0(VALU_DEP_2) | instskip(NEXT) | instid1(VALU_DEP_1)
	v_ldexp_f64 v[42:43], v[42:43], v45
	v_add_f64_e32 v[46:47], 1.0, v[42:43]
	v_add_f64_e32 v[44:45], -1.0, v[42:43]
	s_delay_alu instid0(VALU_DEP_2) | instskip(NEXT) | instid1(VALU_DEP_1)
	v_add_f64_e32 v[48:49], -1.0, v[46:47]
	v_add_f64_e64 v[42:43], v[42:43], -v[48:49]
	v_rcp_f64_e32 v[48:49], v[46:47]
	v_nop
	s_delay_alu instid0(TRANS32_DEP_1) | instskip(NEXT) | instid1(VALU_DEP_1)
	v_fma_f64 v[50:51], -v[46:47], v[48:49], 1.0
	v_fmac_f64_e32 v[48:49], v[50:51], v[48:49]
	s_delay_alu instid0(VALU_DEP_1) | instskip(NEXT) | instid1(VALU_DEP_1)
	v_fma_f64 v[50:51], -v[46:47], v[48:49], 1.0
	v_fmac_f64_e32 v[48:49], v[50:51], v[48:49]
	s_delay_alu instid0(VALU_DEP_1) | instskip(NEXT) | instid1(VALU_DEP_1)
	v_mul_f64_e32 v[50:51], v[44:45], v[48:49]
	v_mul_f64_e32 v[52:53], v[46:47], v[50:51]
	s_delay_alu instid0(VALU_DEP_1) | instskip(NEXT) | instid1(VALU_DEP_1)
	v_fma_f64 v[46:47], v[50:51], v[46:47], -v[52:53]
	v_fmac_f64_e32 v[46:47], v[50:51], v[42:43]
	s_delay_alu instid0(VALU_DEP_1) | instskip(NEXT) | instid1(VALU_DEP_1)
	v_add_f64_e32 v[42:43], v[52:53], v[46:47]
	v_add_f64_e64 v[54:55], v[44:45], -v[42:43]
	v_add_f64_e64 v[52:53], v[42:43], -v[52:53]
	s_delay_alu instid0(VALU_DEP_2) | instskip(NEXT) | instid1(VALU_DEP_1)
	v_add_f64_e64 v[44:45], v[44:45], -v[54:55]
	v_add_f64_e64 v[42:43], v[44:45], -v[42:43]
	s_delay_alu instid0(VALU_DEP_3) | instskip(NEXT) | instid1(VALU_DEP_1)
	v_add_f64_e64 v[44:45], v[52:53], -v[46:47]
	v_add_f64_e32 v[42:43], v[44:45], v[42:43]
	s_delay_alu instid0(VALU_DEP_1) | instskip(NEXT) | instid1(VALU_DEP_1)
	v_add_f64_e32 v[42:43], v[54:55], v[42:43]
	v_mul_f64_e32 v[42:43], v[48:49], v[42:43]
	s_delay_alu instid0(VALU_DEP_1) | instskip(NEXT) | instid1(VALU_DEP_1)
	v_add_f64_e32 v[44:45], v[50:51], v[42:43]
	v_add_f64_e64 v[46:47], v[44:45], -v[50:51]
	s_delay_alu instid0(VALU_DEP_1) | instskip(SKIP_1) | instid1(VALU_DEP_2)
	v_add_f64_e64 v[42:43], v[42:43], -v[46:47]
	v_mul_f64_e32 v[46:47], v[44:45], v[44:45]
	v_add_f64_e32 v[50:51], v[42:43], v[42:43]
	s_delay_alu instid0(VALU_DEP_2) | instskip(NEXT) | instid1(VALU_DEP_1)
	v_fma_f64 v[48:49], v[44:45], v[44:45], -v[46:47]
	v_fmac_f64_e32 v[48:49], v[44:45], v[50:51]
	s_delay_alu instid0(VALU_DEP_1) | instskip(NEXT) | instid1(VALU_DEP_1)
	v_add_f64_e32 v[50:51], v[46:47], v[48:49]
	v_fmac_f64_e32 v[6:7], 0x3fbdee674222de17, v[50:51]
	v_add_f64_e64 v[46:47], v[50:51], -v[46:47]
	s_delay_alu instid0(VALU_DEP_2) | instskip(NEXT) | instid1(VALU_DEP_2)
	v_fmac_f64_e32 v[38:39], v[50:51], v[6:7]
	v_add_f64_e64 v[46:47], v[48:49], -v[46:47]
	v_cvt_f64_i32_e32 v[6:7], v56
	s_delay_alu instid0(VALU_DEP_3) | instskip(NEXT) | instid1(VALU_DEP_1)
	v_fmac_f64_e32 v[36:37], v[50:51], v[38:39]
	v_fmac_f64_e32 v[34:35], v[50:51], v[36:37]
	s_delay_alu instid0(VALU_DEP_1) | instskip(SKIP_1) | instid1(VALU_DEP_2)
	v_fmac_f64_e32 v[32:33], v[50:51], v[34:35]
	v_mul_f64_e32 v[34:35], v[44:45], v[50:51]
	v_fmac_f64_e32 v[30:31], v[50:51], v[32:33]
	s_delay_alu instid0(VALU_DEP_2) | instskip(SKIP_1) | instid1(VALU_DEP_3)
	v_fma_f64 v[36:37], v[50:51], v[44:45], -v[34:35]
	v_ldexp_f64 v[32:33], v[42:43], 1
	v_fmac_f64_e32 v[28:29], v[50:51], v[30:31]
	s_delay_alu instid0(VALU_DEP_3) | instskip(NEXT) | instid1(VALU_DEP_2)
	v_fmac_f64_e32 v[36:37], v[50:51], v[42:43]
	v_fmac_f64_e32 v[26:27], v[50:51], v[28:29]
	s_delay_alu instid0(VALU_DEP_2) | instskip(SKIP_1) | instid1(VALU_DEP_2)
	v_fmac_f64_e32 v[36:37], v[46:47], v[44:45]
	v_mul_f64_e32 v[28:29], 0x3fe62e42fefa39ef, v[6:7]
	v_add_f64_e32 v[38:39], v[34:35], v[36:37]
	s_delay_alu instid0(VALU_DEP_2) | instskip(NEXT) | instid1(VALU_DEP_2)
	v_fma_f64 v[30:31], v[6:7], s[14:15], -v[28:29]
	v_add_f64_e64 v[34:35], v[38:39], -v[34:35]
	s_delay_alu instid0(VALU_DEP_2) | instskip(NEXT) | instid1(VALU_DEP_2)
	v_fmac_f64_e32 v[30:31], 0x3c7abc9e3b39803f, v[6:7]
	v_add_f64_e64 v[34:35], v[36:37], -v[34:35]
	v_mul_f64_e32 v[36:37], v[50:51], v[26:27]
	s_delay_alu instid0(VALU_DEP_3) | instskip(NEXT) | instid1(VALU_DEP_2)
	v_add_f64_e32 v[6:7], v[28:29], v[30:31]
	v_fma_f64 v[42:43], v[50:51], v[26:27], -v[36:37]
	s_delay_alu instid0(VALU_DEP_2) | instskip(NEXT) | instid1(VALU_DEP_2)
	v_add_f64_e64 v[28:29], v[6:7], -v[28:29]
	v_fmac_f64_e32 v[42:43], v[46:47], v[26:27]
	s_delay_alu instid0(VALU_DEP_2) | instskip(SKIP_1) | instid1(VALU_DEP_3)
	v_add_f64_e64 v[28:29], v[30:31], -v[28:29]
	v_ldexp_f64 v[30:31], v[44:45], 1
	v_add_f64_e32 v[26:27], v[36:37], v[42:43]
	s_delay_alu instid0(VALU_DEP_1) | instskip(NEXT) | instid1(VALU_DEP_1)
	v_add_f64_e64 v[36:37], v[26:27], -v[36:37]
	v_add_f64_e64 v[36:37], v[42:43], -v[36:37]
	v_add_f64_e32 v[42:43], 0x3fe5555555555555, v[26:27]
	s_delay_alu instid0(VALU_DEP_2) | instskip(NEXT) | instid1(VALU_DEP_2)
	v_add_f64_e32 v[36:37], 0x3c8543b0d5df274d, v[36:37]
	v_add_f64_e32 v[44:45], 0xbfe5555555555555, v[42:43]
	s_delay_alu instid0(VALU_DEP_1) | instskip(NEXT) | instid1(VALU_DEP_1)
	v_add_f64_e64 v[26:27], v[26:27], -v[44:45]
	v_add_f64_e32 v[26:27], v[36:37], v[26:27]
	s_delay_alu instid0(VALU_DEP_1) | instskip(NEXT) | instid1(VALU_DEP_1)
	v_add_f64_e32 v[36:37], v[42:43], v[26:27]
	v_add_f64_e64 v[42:43], v[42:43], -v[36:37]
	s_delay_alu instid0(VALU_DEP_1) | instskip(SKIP_1) | instid1(VALU_DEP_1)
	v_add_f64_e32 v[26:27], v[26:27], v[42:43]
	v_mul_f64_e32 v[42:43], v[38:39], v[36:37]
	v_fma_f64 v[44:45], v[38:39], v[36:37], -v[42:43]
	s_delay_alu instid0(VALU_DEP_1) | instskip(NEXT) | instid1(VALU_DEP_1)
	v_fmac_f64_e32 v[44:45], v[38:39], v[26:27]
	v_fmac_f64_e32 v[44:45], v[34:35], v[36:37]
	s_delay_alu instid0(VALU_DEP_1) | instskip(NEXT) | instid1(VALU_DEP_1)
	v_add_f64_e32 v[26:27], v[42:43], v[44:45]
	v_add_f64_e64 v[34:35], v[26:27], -v[42:43]
	v_add_f64_e32 v[36:37], v[30:31], v[26:27]
	s_delay_alu instid0(VALU_DEP_2) | instskip(NEXT) | instid1(VALU_DEP_2)
	v_add_f64_e64 v[34:35], v[44:45], -v[34:35]
	v_add_f64_e64 v[30:31], v[36:37], -v[30:31]
	s_delay_alu instid0(VALU_DEP_1) | instskip(NEXT) | instid1(VALU_DEP_3)
	v_add_f64_e64 v[26:27], v[26:27], -v[30:31]
	v_add_f64_e32 v[30:31], v[32:33], v[34:35]
	s_delay_alu instid0(VALU_DEP_1) | instskip(NEXT) | instid1(VALU_DEP_1)
	v_add_f64_e32 v[26:27], v[30:31], v[26:27]
	v_add_f64_e32 v[30:31], v[36:37], v[26:27]
	s_delay_alu instid0(VALU_DEP_1) | instskip(NEXT) | instid1(VALU_DEP_1)
	v_add_f64_e64 v[32:33], v[30:31], -v[36:37]
	v_add_f64_e64 v[26:27], v[26:27], -v[32:33]
	v_add_f64_e32 v[32:33], v[6:7], v[30:31]
	s_delay_alu instid0(VALU_DEP_1) | instskip(NEXT) | instid1(VALU_DEP_1)
	v_add_f64_e64 v[34:35], v[32:33], -v[6:7]
	v_add_f64_e64 v[36:37], v[32:33], -v[34:35]
	;; [unrolled: 1-line block ×3, first 2 shown]
	s_delay_alu instid0(VALU_DEP_2) | instskip(NEXT) | instid1(VALU_DEP_1)
	v_add_f64_e64 v[6:7], v[6:7], -v[36:37]
	v_add_f64_e32 v[6:7], v[30:31], v[6:7]
	v_add_f64_e32 v[30:31], v[28:29], v[26:27]
	s_delay_alu instid0(VALU_DEP_1) | instskip(NEXT) | instid1(VALU_DEP_3)
	v_add_f64_e64 v[34:35], v[30:31], -v[28:29]
	v_add_f64_e32 v[6:7], v[30:31], v[6:7]
	s_delay_alu instid0(VALU_DEP_2) | instskip(SKIP_1) | instid1(VALU_DEP_2)
	v_add_f64_e64 v[36:37], v[30:31], -v[34:35]
	v_add_f64_e64 v[26:27], v[26:27], -v[34:35]
	;; [unrolled: 1-line block ×3, first 2 shown]
	s_delay_alu instid0(VALU_DEP_1) | instskip(SKIP_1) | instid1(VALU_DEP_1)
	v_add_f64_e32 v[26:27], v[26:27], v[28:29]
	v_add_f64_e32 v[28:29], v[32:33], v[6:7]
	v_add_f64_e64 v[30:31], v[28:29], -v[32:33]
	s_delay_alu instid0(VALU_DEP_1) | instskip(NEXT) | instid1(VALU_DEP_1)
	v_add_f64_e64 v[6:7], v[6:7], -v[30:31]
	v_add_f64_e32 v[6:7], v[26:27], v[6:7]
	s_delay_alu instid0(VALU_DEP_1) | instskip(NEXT) | instid1(VALU_DEP_1)
	v_add_f64_e32 v[26:27], v[28:29], v[6:7]
	v_add_f64_e64 v[28:29], v[26:27], -v[28:29]
	s_delay_alu instid0(VALU_DEP_1) | instskip(SKIP_1) | instid1(VALU_DEP_1)
	v_add_f64_e64 v[6:7], v[6:7], -v[28:29]
	v_mul_f64_e32 v[28:29], v[40:41], v[26:27]
	v_fma_f64 v[26:27], v[40:41], v[26:27], -v[28:29]
	v_cmp_class_f64_e64 vcc_lo, v[28:29], 0x204
	s_delay_alu instid0(VALU_DEP_2) | instskip(NEXT) | instid1(VALU_DEP_1)
	v_fmac_f64_e32 v[26:27], v[40:41], v[6:7]
	v_add_f64_e32 v[6:7], v[28:29], v[26:27]
	s_delay_alu instid0(VALU_DEP_1) | instskip(SKIP_1) | instid1(VALU_DEP_1)
	v_add_f64_e64 v[30:31], v[6:7], -v[28:29]
	v_dual_cndmask_b32 v7, v7, v29 :: v_dual_cndmask_b32 v6, v6, v28
	v_mul_f64_e32 v[28:29], 0x3ff71547652b82fe, v[6:7]
	v_cmp_neq_f64_e64 vcc_lo, 0x7ff00000, |v[6:7]|
	v_cmp_ngt_f64_e64 s0, 0xc090cc00, v[6:7]
	v_add_f64_e64 v[26:27], v[26:27], -v[30:31]
	s_delay_alu instid0(VALU_DEP_4) | instskip(NEXT) | instid1(VALU_DEP_2)
	v_rndne_f64_e32 v[28:29], v[28:29]
	v_dual_cndmask_b32 v27, 0, v27 :: v_dual_cndmask_b32 v26, 0, v26
	v_cmp_nlt_f64_e32 vcc_lo, 0x40900000, v[6:7]
	s_delay_alu instid0(VALU_DEP_3) | instskip(NEXT) | instid1(VALU_DEP_1)
	v_fmamk_f64 v[30:31], v[28:29], 0xbfe62e42fefa39ef, v[6:7]
	v_fmac_f64_e32 v[30:31], 0xbc7abc9e3b39803f, v[28:29]
	s_delay_alu instid0(VALU_DEP_1) | instskip(NEXT) | instid1(VALU_DEP_1)
	v_fmac_f64_e32 v[4:5], 0x3e5ade156a5dcb37, v[30:31]
	v_fmac_f64_e32 v[22:23], v[30:31], v[4:5]
	s_delay_alu instid0(VALU_DEP_1) | instskip(NEXT) | instid1(VALU_DEP_1)
	v_fmac_f64_e32 v[20:21], v[30:31], v[22:23]
	v_fmac_f64_e32 v[18:19], v[30:31], v[20:21]
	s_delay_alu instid0(VALU_DEP_1) | instskip(NEXT) | instid1(VALU_DEP_1)
	v_fmac_f64_e32 v[16:17], v[30:31], v[18:19]
	v_fmac_f64_e32 v[14:15], v[30:31], v[16:17]
	s_delay_alu instid0(VALU_DEP_1) | instskip(NEXT) | instid1(VALU_DEP_1)
	v_fmac_f64_e32 v[12:13], v[30:31], v[14:15]
	v_fmac_f64_e32 v[8:9], v[30:31], v[12:13]
	s_delay_alu instid0(VALU_DEP_1) | instskip(SKIP_1) | instid1(VALU_DEP_2)
	v_fmac_f64_e32 v[10:11], v[30:31], v[8:9]
	v_cvt_i32_f64_e32 v8, v[28:29]
	v_fma_f64 v[4:5], v[30:31], v[10:11], 1.0
	s_delay_alu instid0(VALU_DEP_1) | instskip(NEXT) | instid1(VALU_DEP_1)
	v_fma_f64 v[4:5], v[30:31], v[4:5], 1.0
	v_ldexp_f64 v[4:5], v[4:5], v8
	s_delay_alu instid0(VALU_DEP_1)
	v_cndmask_b32_e32 v5, 0x7ff00000, v5, vcc_lo
	s_and_b32 vcc_lo, s0, vcc_lo
	s_delay_alu instid0(VALU_DEP_1) | instid1(SALU_CYCLE_1)
	v_dual_cndmask_b32 v4, 0, v4, vcc_lo :: v_dual_cndmask_b32 v5, 0, v5, s0
	s_delay_alu instid0(VALU_DEP_1) | instskip(SKIP_1) | instid1(VALU_DEP_2)
	v_fma_f64 v[6:7], v[4:5], v[26:27], v[4:5]
	v_cmp_class_f64_e64 vcc_lo, v[4:5], 0x204
	v_dual_cndmask_b32 v8, v6, v4 :: v_dual_cndmask_b32 v9, v7, v5
	v_trunc_f64_e32 v[4:5], v[40:41]
	s_delay_alu instid0(VALU_DEP_1) | instskip(SKIP_1) | instid1(VALU_DEP_1)
	v_cmp_eq_f64_e32 vcc_lo, v[4:5], v[40:41]
	v_mul_f64_e32 v[4:5], 0.5, v[40:41]
	v_trunc_f64_e32 v[6:7], v[4:5]
	s_delay_alu instid0(VALU_DEP_1)
	v_cmp_neq_f64_e64 s0, v[6:7], v[4:5]
	s_and_b32 vcc_lo, vcc_lo, s0
	v_cmp_eq_f64_e64 s0, 0, v[24:25]
	v_cndmask_b32_e32 v4, 0x3ff00000, v25, vcc_lo
	v_cndmask_b32_e32 v6, 0, v25, vcc_lo
	v_cmp_o_f64_e32 vcc_lo, v[24:25], v[24:25]
	s_delay_alu instid0(VALU_DEP_3) | instskip(SKIP_2) | instid1(SALU_CYCLE_1)
	v_bfi_b32 v4, 0x7fffffff, v9, v4
	s_or_b32 s1, s0, s1
	s_xor_b32 s0, s0, s2
	v_cndmask_b32_e64 v5, 0x7ff00000, 0, s0
	s_delay_alu instid0(VALU_DEP_1) | instskip(NEXT) | instid1(VALU_DEP_1)
	v_bfi_b32 v5, 0x7fffffff, v5, v6
	v_cndmask_b32_e64 v5, v4, v5, s1
	v_cndmask_b32_e64 v4, v8, 0, s1
	s_delay_alu instid0(VALU_DEP_2) | instskip(NEXT) | instid1(VALU_DEP_2)
	v_cndmask_b32_e32 v5, 0x7ff80000, v5, vcc_lo
	v_cndmask_b32_e32 v4, 0, v4, vcc_lo
	s_delay_alu instid0(VALU_DEP_1)
	v_mul_f64_e32 v[40:41], v[2:3], v[4:5]
.LBB0_5:
	s_or_b32 exec_lo, exec_lo, s3
	s_wait_kmcnt 0x0
	v_lshl_add_u64 v[0:1], v[0:1], 3, s[4:5]
	global_store_b64 v[0:1], v[40:41], off
.LBB0_6:
	s_endpgm
	.section	.rodata,"a",@progbits
	.p2align	6, 0x0
	.amdhsa_kernel _Z12vanGenuchtenPKdS0_PdS1_S1_i
		.amdhsa_group_segment_fixed_size 0
		.amdhsa_private_segment_fixed_size 0
		.amdhsa_kernarg_size 304
		.amdhsa_user_sgpr_count 2
		.amdhsa_user_sgpr_dispatch_ptr 0
		.amdhsa_user_sgpr_queue_ptr 0
		.amdhsa_user_sgpr_kernarg_segment_ptr 1
		.amdhsa_user_sgpr_dispatch_id 0
		.amdhsa_user_sgpr_kernarg_preload_length 0
		.amdhsa_user_sgpr_kernarg_preload_offset 0
		.amdhsa_user_sgpr_private_segment_size 0
		.amdhsa_wavefront_size32 1
		.amdhsa_uses_dynamic_stack 0
		.amdhsa_enable_private_segment 0
		.amdhsa_system_sgpr_workgroup_id_x 1
		.amdhsa_system_sgpr_workgroup_id_y 0
		.amdhsa_system_sgpr_workgroup_id_z 0
		.amdhsa_system_sgpr_workgroup_info 0
		.amdhsa_system_vgpr_workitem_id 0
		.amdhsa_next_free_vgpr 64
		.amdhsa_next_free_sgpr 17
		.amdhsa_named_barrier_count 0
		.amdhsa_reserve_vcc 1
		.amdhsa_float_round_mode_32 0
		.amdhsa_float_round_mode_16_64 0
		.amdhsa_float_denorm_mode_32 3
		.amdhsa_float_denorm_mode_16_64 3
		.amdhsa_fp16_overflow 0
		.amdhsa_memory_ordered 1
		.amdhsa_forward_progress 1
		.amdhsa_inst_pref_size 81
		.amdhsa_round_robin_scheduling 0
		.amdhsa_exception_fp_ieee_invalid_op 0
		.amdhsa_exception_fp_denorm_src 0
		.amdhsa_exception_fp_ieee_div_zero 0
		.amdhsa_exception_fp_ieee_overflow 0
		.amdhsa_exception_fp_ieee_underflow 0
		.amdhsa_exception_fp_ieee_inexact 0
		.amdhsa_exception_int_div_zero 0
	.end_amdhsa_kernel
	.text
.Lfunc_end0:
	.size	_Z12vanGenuchtenPKdS0_PdS1_S1_i, .Lfunc_end0-_Z12vanGenuchtenPKdS0_PdS1_S1_i
                                        ; -- End function
	.set _Z12vanGenuchtenPKdS0_PdS1_S1_i.num_vgpr, 64
	.set _Z12vanGenuchtenPKdS0_PdS1_S1_i.num_agpr, 0
	.set _Z12vanGenuchtenPKdS0_PdS1_S1_i.numbered_sgpr, 17
	.set _Z12vanGenuchtenPKdS0_PdS1_S1_i.num_named_barrier, 0
	.set _Z12vanGenuchtenPKdS0_PdS1_S1_i.private_seg_size, 0
	.set _Z12vanGenuchtenPKdS0_PdS1_S1_i.uses_vcc, 1
	.set _Z12vanGenuchtenPKdS0_PdS1_S1_i.uses_flat_scratch, 0
	.set _Z12vanGenuchtenPKdS0_PdS1_S1_i.has_dyn_sized_stack, 0
	.set _Z12vanGenuchtenPKdS0_PdS1_S1_i.has_recursion, 0
	.set _Z12vanGenuchtenPKdS0_PdS1_S1_i.has_indirect_call, 0
	.section	.AMDGPU.csdata,"",@progbits
; Kernel info:
; codeLenInByte = 10348
; TotalNumSgprs: 19
; NumVgprs: 64
; ScratchSize: 0
; MemoryBound: 0
; FloatMode: 240
; IeeeMode: 1
; LDSByteSize: 0 bytes/workgroup (compile time only)
; SGPRBlocks: 0
; VGPRBlocks: 3
; NumSGPRsForWavesPerEU: 19
; NumVGPRsForWavesPerEU: 64
; NamedBarCnt: 0
; Occupancy: 16
; WaveLimiterHint : 0
; COMPUTE_PGM_RSRC2:SCRATCH_EN: 0
; COMPUTE_PGM_RSRC2:USER_SGPR: 2
; COMPUTE_PGM_RSRC2:TRAP_HANDLER: 0
; COMPUTE_PGM_RSRC2:TGID_X_EN: 1
; COMPUTE_PGM_RSRC2:TGID_Y_EN: 0
; COMPUTE_PGM_RSRC2:TGID_Z_EN: 0
; COMPUTE_PGM_RSRC2:TIDIG_COMP_CNT: 0
	.text
	.p2alignl 7, 3214868480
	.fill 96, 4, 3214868480
	.section	.AMDGPU.gpr_maximums,"",@progbits
	.set amdgpu.max_num_vgpr, 0
	.set amdgpu.max_num_agpr, 0
	.set amdgpu.max_num_sgpr, 0
	.text
	.type	__hip_cuid_3b7b2df8412bdbbb,@object ; @__hip_cuid_3b7b2df8412bdbbb
	.section	.bss,"aw",@nobits
	.globl	__hip_cuid_3b7b2df8412bdbbb
__hip_cuid_3b7b2df8412bdbbb:
	.byte	0                               ; 0x0
	.size	__hip_cuid_3b7b2df8412bdbbb, 1

	.ident	"AMD clang version 22.0.0git (https://github.com/RadeonOpenCompute/llvm-project roc-7.2.4 26084 f58b06dce1f9c15707c5f808fd002e18c2accf7e)"
	.section	".note.GNU-stack","",@progbits
	.addrsig
	.addrsig_sym __hip_cuid_3b7b2df8412bdbbb
	.amdgpu_metadata
---
amdhsa.kernels:
  - .args:
      - .actual_access:  read_only
        .address_space:  global
        .offset:         0
        .size:           8
        .value_kind:     global_buffer
      - .actual_access:  read_only
        .address_space:  global
        .offset:         8
        .size:           8
        .value_kind:     global_buffer
      - .actual_access:  write_only
        .address_space:  global
        .offset:         16
        .size:           8
        .value_kind:     global_buffer
      - .actual_access:  write_only
        .address_space:  global
        .offset:         24
        .size:           8
        .value_kind:     global_buffer
      - .actual_access:  write_only
        .address_space:  global
        .offset:         32
        .size:           8
        .value_kind:     global_buffer
      - .offset:         40
        .size:           4
        .value_kind:     by_value
      - .offset:         48
        .size:           4
        .value_kind:     hidden_block_count_x
      - .offset:         52
        .size:           4
        .value_kind:     hidden_block_count_y
      - .offset:         56
        .size:           4
        .value_kind:     hidden_block_count_z
      - .offset:         60
        .size:           2
        .value_kind:     hidden_group_size_x
      - .offset:         62
        .size:           2
        .value_kind:     hidden_group_size_y
      - .offset:         64
        .size:           2
        .value_kind:     hidden_group_size_z
      - .offset:         66
        .size:           2
        .value_kind:     hidden_remainder_x
      - .offset:         68
        .size:           2
        .value_kind:     hidden_remainder_y
      - .offset:         70
        .size:           2
        .value_kind:     hidden_remainder_z
      - .offset:         88
        .size:           8
        .value_kind:     hidden_global_offset_x
      - .offset:         96
        .size:           8
        .value_kind:     hidden_global_offset_y
      - .offset:         104
        .size:           8
        .value_kind:     hidden_global_offset_z
      - .offset:         112
        .size:           2
        .value_kind:     hidden_grid_dims
    .group_segment_fixed_size: 0
    .kernarg_segment_align: 8
    .kernarg_segment_size: 304
    .language:       OpenCL C
    .language_version:
      - 2
      - 0
    .max_flat_workgroup_size: 1024
    .name:           _Z12vanGenuchtenPKdS0_PdS1_S1_i
    .private_segment_fixed_size: 0
    .sgpr_count:     19
    .sgpr_spill_count: 0
    .symbol:         _Z12vanGenuchtenPKdS0_PdS1_S1_i.kd
    .uniform_work_group_size: 1
    .uses_dynamic_stack: false
    .vgpr_count:     64
    .vgpr_spill_count: 0
    .wavefront_size: 32
amdhsa.target:   amdgcn-amd-amdhsa--gfx1250
amdhsa.version:
  - 1
  - 2
...

	.end_amdgpu_metadata
